;; amdgpu-corpus repo=ROCm/rocFFT kind=compiled arch=gfx950 opt=O3
	.text
	.amdgcn_target "amdgcn-amd-amdhsa--gfx950"
	.amdhsa_code_object_version 6
	.protected	bluestein_single_back_len891_dim1_sp_op_CI_CI ; -- Begin function bluestein_single_back_len891_dim1_sp_op_CI_CI
	.globl	bluestein_single_back_len891_dim1_sp_op_CI_CI
	.p2align	8
	.type	bluestein_single_back_len891_dim1_sp_op_CI_CI,@function
bluestein_single_back_len891_dim1_sp_op_CI_CI: ; @bluestein_single_back_len891_dim1_sp_op_CI_CI
; %bb.0:
	s_load_dwordx4 s[16:19], s[0:1], 0x28
	v_mul_u32_u24_e32 v1, 0x296, v0
	v_lshrrev_b32_e32 v1, 16, v1
	v_mov_b32_e32 v61, 0
	v_lshl_add_u32 v66, s2, 1, v1
	v_mov_b32_e32 v67, v61
	s_waitcnt lgkmcnt(0)
	v_cmp_gt_u64_e32 vcc, s[16:17], v[66:67]
	s_and_saveexec_b64 s[2:3], vcc
	s_cbranch_execz .LBB0_12
; %bb.1:
	s_load_dwordx4 s[4:7], s[0:1], 0x18
	s_load_dwordx4 s[8:11], s[0:1], 0x0
	v_mul_lo_u16_e32 v4, 0x63, v1
	v_sub_u16_e32 v60, v0, v4
	v_mov_b32_e32 v2, s18
	s_waitcnt lgkmcnt(0)
	s_load_dwordx4 s[12:15], s[4:5], 0x0
	v_mov_b32_e32 v3, s19
	s_mov_b32 s18, 0x3f248dbb
	s_mov_b32 s19, 0xbf248dbb
	;; [unrolled: 1-line block ×3, first 2 shown]
	s_waitcnt lgkmcnt(0)
	v_mad_u64_u32 v[4:5], s[2:3], s14, v66, 0
	v_mov_b32_e32 v0, v5
	v_mad_u64_u32 v[6:7], s[2:3], s15, v66, v[0:1]
	v_mov_b32_e32 v5, v6
	;; [unrolled: 2-line block ×4, first 2 shown]
	v_lshl_add_u64 v[2:3], v[4:5], 3, v[2:3]
	v_lshl_add_u64 v[2:3], v[6:7], 3, v[2:3]
	v_mov_b32_e32 v0, 0x318
	global_load_dwordx2 v[4:5], v[2:3], off
	v_mad_u64_u32 v[2:3], s[2:3], s12, v0, v[2:3]
	s_mul_i32 s4, s13, 0x318
	v_add_u32_e32 v3, s4, v3
	v_mad_u64_u32 v[10:11], s[2:3], s12, v0, v[2:3]
	v_add_u32_e32 v11, s4, v11
	v_mad_u64_u32 v[12:13], s[2:3], s12, v0, v[10:11]
	v_lshlrev_b32_e32 v6, 3, v60
	v_add_u32_e32 v13, s4, v13
	global_load_dwordx2 v[80:81], v6, s[8:9]
	global_load_dwordx2 v[78:79], v6, s[8:9] offset:792
	global_load_dwordx2 v[76:77], v6, s[8:9] offset:1584
	;; [unrolled: 1-line block ×3, first 2 shown]
	global_load_dwordx2 v[14:15], v[2:3], off
	v_mad_u64_u32 v[2:3], s[2:3], s12, v0, v[12:13]
	v_add_u32_e32 v3, s4, v3
	global_load_dwordx2 v[16:17], v[10:11], off
	global_load_dwordx2 v[18:19], v[12:13], off
	;; [unrolled: 1-line block ×3, first 2 shown]
	v_mad_u64_u32 v[2:3], s[2:3], s12, v0, v[2:3]
	v_add_u32_e32 v3, s4, v3
	v_mov_b32_e32 v7, v61
	global_load_dwordx2 v[10:11], v[2:3], off
	global_load_dwordx2 v[74:75], v6, s[8:9] offset:3168
	global_load_dwordx2 v[70:71], v6, s[8:9] offset:3960
	v_mad_u64_u32 v[2:3], s[2:3], s12, v0, v[2:3]
	v_lshl_add_u64 v[8:9], s[8:9], 0, v[6:7]
	v_add_u32_e32 v3, s4, v3
	s_movk_i32 s2, 0x1000
	global_load_dwordx2 v[12:13], v[2:3], off
	v_add_co_u32_e32 v8, vcc, s2, v8
	v_mad_u64_u32 v[2:3], s[2:3], s12, v0, v[2:3]
	s_nop 0
	v_addc_co_u32_e32 v9, vcc, 0, v9, vcc
	v_add_u32_e32 v3, s4, v3
	global_load_dwordx2 v[68:69], v[8:9], off offset:656
	global_load_dwordx2 v[22:23], v[2:3], off
	global_load_dwordx2 v[64:65], v[8:9], off offset:1448
	v_mad_u64_u32 v[2:3], s[2:3], s12, v0, v[2:3]
	v_add_u32_e32 v3, s4, v3
	global_load_dwordx2 v[62:63], v[8:9], off offset:2240
	global_load_dwordx2 v[24:25], v[2:3], off
	v_and_b32_e32 v0, 1, v1
	v_mov_b32_e32 v1, 0x37b
	v_cmp_eq_u32_e32 vcc, 1, v0
	s_load_dwordx4 s[4:7], s[6:7], 0x0
	s_mov_b32 s20, 0x3f441b7d
	v_cndmask_b32_e32 v0, 0, v1, vcc
	v_lshlrev_b32_e32 v130, 3, v0
	v_add_u32_e32 v67, v130, v6
	v_add_u32_e32 v6, 0x400, v67
	;; [unrolled: 1-line block ×4, first 2 shown]
	s_mov_b32 s14, 0x3e31d0d4
	s_mov_b32 s22, 0x3f708fb2
	;; [unrolled: 1-line block ×4, first 2 shown]
	s_mov_b32 s12, -0.5
	s_mov_b32 s13, 0xbf708fb2
                                        ; implicit-def: $vgpr44
                                        ; implicit-def: $vgpr46
	s_waitcnt vmcnt(16)
	v_mul_f32_e32 v0, v5, v81
	v_mul_f32_e32 v1, v4, v81
	v_fmac_f32_e32 v0, v4, v80
	v_fma_f32 v1, v5, v80, -v1
	s_waitcnt vmcnt(12)
	v_mul_f32_e32 v2, v15, v79
	v_mul_f32_e32 v3, v14, v79
	v_fmac_f32_e32 v2, v14, v78
	v_fma_f32 v3, v15, v78, -v3
	ds_write2_b64 v67, v[0:1], v[2:3] offset1:99
	s_waitcnt vmcnt(11)
	v_mul_f32_e32 v0, v17, v77
	v_mul_f32_e32 v1, v16, v77
	s_waitcnt vmcnt(10)
	v_mul_f32_e32 v2, v19, v73
	v_mul_f32_e32 v3, v18, v73
	v_fmac_f32_e32 v0, v16, v76
	v_fma_f32 v1, v17, v76, -v1
	v_fmac_f32_e32 v2, v18, v72
	v_fma_f32 v3, v19, v72, -v3
	ds_write2_b64 v6, v[0:1], v[2:3] offset0:70 offset1:169
	s_waitcnt vmcnt(7)
	v_mul_f32_e32 v0, v21, v75
	v_mul_f32_e32 v1, v20, v75
	s_waitcnt vmcnt(6)
	v_mul_f32_e32 v2, v11, v71
	v_mul_f32_e32 v3, v10, v71
	v_fmac_f32_e32 v0, v20, v74
	v_fma_f32 v1, v21, v74, -v1
	v_fmac_f32_e32 v2, v10, v70
	v_fma_f32 v3, v11, v70, -v3
	ds_write2_b64 v28, v[0:1], v[2:3] offset0:140 offset1:239
	;; [unrolled: 11-line block ×3, first 2 shown]
	s_waitcnt vmcnt(0)
	v_mul_f32_e32 v0, v25, v63
	v_mul_f32_e32 v1, v24, v63
	v_fmac_f32_e32 v0, v24, v62
	v_fma_f32 v1, v25, v62, -v1
	ds_write_b64 v67, v[0:1] offset:6336
	s_waitcnt lgkmcnt(0)
	s_barrier
	ds_read2_b64 v[0:3], v67 offset1:99
	ds_read2_b64 v[4:7], v6 offset0:70 offset1:169
	ds_read_b64 v[16:17], v67 offset:6336
	ds_read2_b64 v[8:11], v8 offset0:82 offset1:181
	s_waitcnt lgkmcnt(3)
	v_mov_b32_e32 v31, v2
	s_waitcnt lgkmcnt(2)
	v_mov_b32_e32 v12, v4
	v_mov_b32_e32 v13, v6
	s_waitcnt lgkmcnt(0)
	v_mov_b32_e32 v14, v10
	v_mov_b32_e32 v15, v8
	v_pk_add_f32 v[26:27], v[12:13], v[14:15] neg_lo:[0,1] neg_hi:[0,1]
	ds_read2_b64 v[12:15], v28 offset0:140 offset1:239
	v_add_f32_e32 v19, v3, v17
	v_sub_f32_e32 v22, v3, v17
	v_sub_f32_e32 v3, v7, v9
	v_add_f32_e32 v21, v4, v10
	v_mul_f32_e32 v24, 0x3f5db3d7, v3
	v_pk_add_f32 v[6:7], v[6:7], v[8:9]
	v_mov_b32_e32 v8, v5
	s_waitcnt lgkmcnt(0)
	v_mov_b32_e32 v9, v13
	v_mov_b32_e32 v10, v11
	;; [unrolled: 1-line block ×6, first 2 shown]
	v_pk_add_f32 v[28:29], v[8:9], v[10:11] neg_lo:[0,1] neg_hi:[0,1]
	v_pk_add_f32 v[16:17], v[30:31], v[2:3]
	v_pk_add_f32 v[8:9], v[8:9], v[10:11]
	v_mov_b32_e32 v18, v17
	v_mov_b32_e32 v10, v21
	;; [unrolled: 1-line block ×3, first 2 shown]
	v_pk_add_f32 v[10:11], v[10:11], v[18:19]
	v_mov_b32_e32 v23, v28
	v_pk_add_f32 v[32:33], v[6:7], v[10:11]
	v_mov_b32_e32 v20, v17
	v_pk_add_f32 v[12:13], v[12:13], v[32:33]
	v_mul_f32_e32 v4, 0.5, v6
	v_pk_add_f32 v[12:13], v[14:15], v[12:13]
	v_mov_b32_e32 v14, v29
	v_mov_b32_e32 v15, v22
	v_pk_mul_f32 v[14:15], v[14:15], s[18:19] op_sel_hi:[1,0]
	v_pk_add_f32 v[2:3], v[30:31], v[2:3] neg_lo:[0,1] neg_hi:[0,1]
	v_pk_fma_f32 v[32:33], v[22:23], s[16:17], v[14:15] op_sel_hi:[1,0,1] neg_lo:[0,0,1] neg_hi:[0,0,1]
	v_pk_fma_f32 v[14:15], v[22:23], s[16:17], v[14:15] op_sel_hi:[1,0,1]
	v_pk_add_f32 v[32:33], v[32:33], v[24:25] neg_lo:[0,1] neg_hi:[0,1]
	v_pk_add_f32 v[14:15], v[14:15], v[24:25] op_sel_hi:[1,0]
	v_mul_f32_e32 v18, 0x3f7c1c5c, v29
	v_mov_b32_e32 v33, v15
	v_pk_fma_f32 v[14:15], v[16:17], s[20:21], v[0:1] op_sel_hi:[1,0,0]
	v_fmamk_f32 v31, v9, 0x3f441b7d, v1
	v_pk_fma_f32 v[14:15], v[20:21], s[14:15], v[14:15] op_sel_hi:[1,0,1]
	v_fmac_f32_e32 v31, 0x3e31d0d4, v19
	v_pk_add_f32 v[4:5], v[14:15], v[4:5] op_sel_hi:[1,0] neg_lo:[0,1] neg_hi:[0,1]
	v_mov_b32_e32 v14, v21
	v_mov_b32_e32 v15, v16
	v_pk_fma_f32 v[4:5], v[14:15], s[22:23], v[4:5] op_sel_hi:[1,0,1] neg_lo:[1,0,0] neg_hi:[1,0,0]
	v_add_f32_e32 v14, v29, v22
	v_sub_f32_e32 v14, v14, v28
	v_mul_f32_e32 v15, 0x3f5db3d7, v14
	v_fmamk_f32 v14, v21, 0x3f441b7d, v0
	v_fmac_f32_e32 v14, 0x3e31d0d4, v16
	v_fmac_f32_e32 v14, -0.5, v6
	v_fmac_f32_e32 v14, 0xbf708fb2, v17
	v_pk_add_f32 v[16:17], v[16:17], v[10:11]
	v_pk_mul_f32 v[20:21], v[26:27], s[2:3]
	s_mov_b32 s3, 0.5
	v_mul_f32_e32 v17, 0xbf248dbb, v2
	v_pk_fma_f32 v[32:33], v[28:29], s[2:3], v[32:33] op_sel_hi:[1,0,1]
	v_fma_f32 v28, v28, s19, -v18
	v_pk_add_f32 v[10:11], v[8:9], v[10:11]
	v_fmac_f32_e32 v17, 0x3f7c1c5c, v3
	v_mov_b32_e32 v25, v6
	v_mov_b32_e32 v29, v0
	v_add_f32_e32 v30, v7, v1
	v_fmac_f32_e32 v31, -0.5, v7
	v_mov_b32_e32 v10, v11
	v_mov_b32_e32 v11, v8
	v_sub_f32_e32 v17, v17, v21
	v_add_f32_e32 v18, v2, v3
	v_pk_add_f32 v[36:37], v[4:5], v[32:33]
	v_pk_add_f32 v[4:5], v[24:25], v[28:29]
	v_mov_b32_e32 v23, v16
	v_pk_fma_f32 v[10:11], v[10:11], s[12:13], v[30:31]
	v_sub_f32_e32 v18, v18, v26
	v_add_f32_e32 v31, v20, v17
	v_pk_fma_f32 v[16:17], v[22:23], s[2:3], v[4:5]
	v_pk_fma_f32 v[4:5], v[22:23], s[2:3], v[4:5] neg_lo:[1,0,0] neg_hi:[1,0,0]
	v_mov_b32_e32 v27, v2
	v_mul_f32_e32 v30, 0x3f5db3d7, v18
	v_mov_b32_e32 v18, v3
	v_mov_b32_e32 v22, v3
	;; [unrolled: 1-line block ×4, first 2 shown]
	v_pk_mul_f32 v[4:5], v[26:27], s[16:17] op_sel_hi:[1,0]
	v_mul_f32_e32 v6, 0.5, v7
	v_pk_fma_f32 v[34:35], v[18:19], s[18:19], v[4:5]
	v_pk_fma_f32 v[4:5], v[22:23], s[18:19], v[4:5] neg_lo:[0,0,1] neg_hi:[0,0,1]
	v_mov_b32_e32 v18, v9
	v_mov_b32_e32 v35, v5
	v_pk_add_f32 v[4:5], v[20:21], v[34:35] op_sel:[1,0]
	v_pk_add_f32 v[20:21], v[12:13], v[0:1]
	v_pk_fma_f32 v[2:3], v[2:3], s[2:3], v[4:5] op_sel_hi:[1,0,1]
	v_mov_b32_e32 v4, v19
	v_mov_b32_e32 v5, v8
	v_pk_fma_f32 v[4:5], v[4:5], s[20:21], v[0:1] op_sel:[0,0,1] op_sel_hi:[1,0,1]
	s_load_dwordx2 s[12:13], s[0:1], 0x38
	v_pk_fma_f32 v[0:1], v[8:9], s[14:15], v[4:5] op_sel_hi:[1,0,1]
	v_fma_f32 v26, -2.0, v32, v36
	v_pk_add_f32 v[0:1], v[0:1], v[6:7] op_sel_hi:[1,0] neg_lo:[0,1] neg_hi:[0,1]
	v_fma_f32 v28, -2.0, v33, v37
	v_pk_fma_f32 v[0:1], v[18:19], s[22:23], v[0:1] op_sel_hi:[1,0,1] neg_lo:[1,0,0] neg_hi:[1,0,0]
	v_pk_add_f32 v[38:39], v[16:17], v[14:15]
	v_pk_add_f32 v[32:33], v[0:1], v[2:3] neg_lo:[0,1] neg_hi:[0,1]
	v_mul_lo_u16_e32 v0, 9, v60
	v_pk_add_f32 v[22:23], v[10:11], v[30:31] neg_lo:[0,1] neg_hi:[0,1]
	v_lshl_add_u32 v133, v0, 3, v130
	v_mov_b32_e32 v0, v37
	v_mov_b32_e32 v1, v32
	s_movk_i32 s0, 0x51
	v_pk_fma_f32 v[40:41], v[30:31], 2.0, v[22:23] op_sel_hi:[1,0,1]
	v_pk_fma_f32 v[42:43], v[2:3], 2.0, v[32:33] op_sel_hi:[1,0,1]
	s_waitcnt lgkmcnt(0)
	s_barrier
	ds_write2_b64 v133, v[20:21], v[0:1] offset1:1
	v_mov_b32_e32 v0, v36
	v_mov_b32_e32 v1, v23
	;; [unrolled: 1-line block ×4, first 2 shown]
	v_cmp_gt_u16_e32 vcc, s0, v60
	s_movk_i32 s0, 0x50
	v_fma_f32 v24, -2.0, v15, v39
	v_fma_f32 v34, -2.0, v16, v38
	ds_write2_b64 v133, v[0:1], v[2:3] offset0:2 offset1:3
	v_mov_b32_e32 v0, v38
	v_mov_b32_e32 v1, v33
	;; [unrolled: 1-line block ×6, first 2 shown]
	v_cmp_lt_u16_e64 s[0:1], s0, v60
	ds_write2_b64 v133, v[0:1], v[34:35] offset0:4 offset1:5
	ds_write2_b64 v133, v[24:25], v[26:27] offset0:6 offset1:7
	ds_write_b64 v133, v[28:29] offset:64
	s_waitcnt lgkmcnt(0)
	s_barrier
	s_and_saveexec_b64 s[2:3], s[0:1]
	s_xor_b64 s[2:3], exec, s[2:3]
; %bb.2:
	v_mov_b32_e32 v44, v23
	v_mov_b32_e32 v46, v33
; %bb.3:
	s_or_saveexec_b64 s[2:3], s[2:3]
                                        ; implicit-def: $vgpr52
                                        ; implicit-def: $vgpr48
                                        ; implicit-def: $vgpr50
	s_xor_b64 exec, exec, s[2:3]
	s_cbranch_execz .LBB0_5
; %bb.4:
	v_add_u32_e32 v5, 0xc00, v67
	ds_read2_b64 v[20:23], v67 offset1:81
	ds_read2_b64 v[0:3], v67 offset0:162 offset1:243
	ds_read2_b64 v[24:27], v5 offset0:102 offset1:183
	v_add_u32_e32 v5, 0x1000, v67
	v_add_u32_e32 v4, 0x800, v67
	ds_read2_b64 v[28:31], v5 offset0:136 offset1:217
	ds_read2_b64 v[32:35], v4 offset0:68 offset1:149
	ds_read_b64 v[48:49], v67 offset:6480
	s_waitcnt lgkmcnt(4)
	v_mov_b32_e32 v39, v2
	s_waitcnt lgkmcnt(3)
	v_mov_b32_e32 v40, v25
	v_mov_b32_e32 v41, v27
	s_waitcnt lgkmcnt(2)
	v_mov_b32_e32 v42, v29
	s_waitcnt lgkmcnt(1)
	v_mov_b32_e32 v43, v35
	v_mov_b32_e32 v38, v32
	v_mov_b32_e32 v36, v0
	v_mov_b32_e32 v37, v22
	v_mov_b32_e32 v46, v33
	v_mov_b32_e32 v22, v3
	v_mov_b32_e32 v44, v1
	v_mov_b32_e32 v32, v23
	v_mov_b32_e32 v52, v31
	s_waitcnt lgkmcnt(0)
	v_mov_b32_e32 v50, v49
.LBB0_5:
	s_or_b64 exec, exec, s[2:3]
	v_mov_b32_e32 v0, 57
	v_mul_lo_u16_sdwa v0, v60, v0 dst_sel:DWORD dst_unused:UNUSED_PAD src0_sel:BYTE_0 src1_sel:DWORD
	v_lshrrev_b16_e32 v131, 9, v0
	v_mul_lo_u16_e32 v0, 9, v131
	v_sub_u16_e32 v132, v60, v0
	v_mov_b32_e32 v0, 10
	v_mul_u32_u24_sdwa v0, v132, v0 dst_sel:DWORD dst_unused:UNUSED_PAD src0_sel:BYTE_0 src1_sel:DWORD
	v_lshlrev_b32_e32 v23, 3, v0
	global_load_dwordx4 v[0:3], v23, s[10:11] offset:32
	global_load_dwordx4 v[4:7], v23, s[10:11] offset:48
	;; [unrolled: 1-line block ×3, first 2 shown]
	global_load_dwordx4 v[8:11], v23, s[10:11]
	global_load_dwordx4 v[16:19], v23, s[10:11] offset:16
	s_mov_b32 s30, 0xbf68dda4
	s_mov_b32 s2, 0x3ed4b147
	;; [unrolled: 1-line block ×13, first 2 shown]
	s_barrier
	s_waitcnt vmcnt(4)
	v_pk_mul_f32 v[54:55], v[42:43], v[0:1] op_sel:[1,0]
	s_waitcnt vmcnt(3)
	v_pk_mul_f32 v[42:43], v[42:43], v[6:7] op_sel_hi:[0,1]
	s_waitcnt vmcnt(2)
	v_pk_mul_f32 v[52:53], v[52:53], v[12:13] op_sel_hi:[0,1]
	;; [unrolled: 2-line block ×3, first 2 shown]
	v_pk_mul_f32 v[82:83], v[44:45], v[10:11] op_sel_hi:[0,1]
	v_pk_mul_f32 v[86:87], v[50:51], v[14:15] op_sel_hi:[0,1]
	;; [unrolled: 1-line block ×3, first 2 shown]
	v_pk_mul_f32 v[58:59], v[40:41], v[4:5] op_sel:[1,0]
	s_waitcnt vmcnt(0)
	v_pk_mul_f32 v[84:85], v[46:47], v[18:19] op_sel_hi:[0,1]
	v_pk_fma_f32 v[40:41], v[34:35], v[0:1], v[54:55] op_sel:[0,0,1] op_sel_hi:[1,1,0] neg_lo:[0,0,1] neg_hi:[0,0,1]
	v_pk_fma_f32 v[88:89], v[34:35], v[0:1], v[54:55] op_sel:[0,0,1] op_sel_hi:[0,1,0]
	v_pk_fma_f32 v[46:47], v[28:29], v[6:7], v[42:43] op_sel:[0,0,1] op_sel_hi:[1,1,0] neg_lo:[0,0,1] neg_hi:[0,0,1]
	v_pk_fma_f32 v[28:29], v[28:29], v[6:7], v[42:43] op_sel:[0,0,1] op_sel_hi:[0,1,0]
	;; [unrolled: 2-line block ×6, first 2 shown]
	v_pk_mul_f32 v[22:23], v[22:23], v[16:17] op_sel_hi:[0,1]
	v_mov_b32_e32 v53, v33
	v_mov_b32_e32 v37, v49
	v_pk_fma_f32 v[34:35], v[24:25], v[2:3], v[56:57] op_sel:[0,0,1] op_sel_hi:[1,1,0] neg_lo:[0,0,1] neg_hi:[0,0,1]
	v_pk_fma_f32 v[24:25], v[24:25], v[2:3], v[56:57] op_sel:[0,0,1] op_sel_hi:[0,1,0]
	v_pk_fma_f32 v[56:57], v[38:39], v[16:17], v[22:23] op_sel:[1,0,1] op_sel_hi:[1,1,0] neg_lo:[0,0,1] neg_hi:[0,0,1]
	v_pk_fma_f32 v[22:23], v[38:39], v[16:17], v[22:23] op_sel:[1,0,1] op_sel_hi:[1,1,0]
	v_mov_b32_e32 v55, v43
	v_mov_b32_e32 v51, v31
	v_pk_add_f32 v[100:101], v[52:53], v[36:37] neg_lo:[0,1] neg_hi:[0,1]
	v_pk_fma_f32 v[44:45], v[26:27], v[4:5], v[58:59] op_sel:[0,0,1] op_sel_hi:[1,1,0] neg_lo:[0,0,1] neg_hi:[0,0,1]
	v_pk_fma_f32 v[26:27], v[26:27], v[4:5], v[58:59] op_sel:[0,0,1] op_sel_hi:[0,1,0]
	v_pk_fma_f32 v[58:59], v[38:39], v[18:19], v[84:85] op_sel:[0,0,1] op_sel_hi:[1,1,0] neg_lo:[0,0,1] neg_hi:[0,0,1]
	v_pk_fma_f32 v[38:39], v[38:39], v[18:19], v[84:85] op_sel:[0,0,1] op_sel_hi:[0,1,0]
	v_mov_b32_e32 v57, v23
	v_mov_b32_e32 v35, v25
	;; [unrolled: 1-line block ×3, first 2 shown]
	v_pk_add_f32 v[30:31], v[52:53], v[36:37]
	v_pk_add_f32 v[102:103], v[54:55], v[50:51] neg_lo:[0,1] neg_hi:[0,1]
	v_pk_mul_f32 v[24:25], v[100:101], s[30:31] op_sel:[1,0] op_sel_hi:[0,0]
	v_mov_b32_e32 v59, v39
	v_mov_b32_e32 v45, v27
	v_pk_add_f32 v[28:29], v[54:55], v[50:51]
	v_pk_add_f32 v[104:105], v[56:57], v[46:47] neg_lo:[0,1] neg_hi:[0,1]
	v_pk_mul_f32 v[32:33], v[102:103], s[16:17] op_sel:[1,0] op_sel_hi:[0,0]
	v_pk_fma_f32 v[92:93], v[30:31], s[2:3], v[24:25] op_sel_hi:[1,0,1]
	v_pk_fma_f32 v[94:95], v[30:31], s[2:3], v[24:25] op_sel_hi:[1,0,1] neg_lo:[0,0,1] neg_hi:[0,0,1]
	v_mov_b32_e32 v41, v89
	v_pk_add_f32 v[26:27], v[56:57], v[46:47]
	v_pk_add_f32 v[106:107], v[58:59], v[44:45] neg_lo:[0,1] neg_hi:[0,1]
	v_pk_mul_f32 v[38:39], v[104:105], s[28:29] op_sel:[1,0] op_sel_hi:[0,0]
	v_pk_fma_f32 v[88:89], v[28:29], s[14:15], v[32:33] op_sel_hi:[1,0,1]
	v_pk_fma_f32 v[90:91], v[28:29], s[14:15], v[32:33] op_sel_hi:[1,0,1] neg_lo:[0,0,1] neg_hi:[0,0,1]
	v_mov_b32_e32 v24, v92
	v_mov_b32_e32 v25, v95
	v_pk_add_f32 v[22:23], v[58:59], v[44:45]
	v_pk_mul_f32 v[42:43], v[106:107], s[24:25] op_sel:[1,0] op_sel_hi:[0,0]
	v_pk_fma_f32 v[84:85], v[26:27], s[20:21], v[38:39] op_sel_hi:[1,0,1]
	v_pk_fma_f32 v[86:87], v[26:27], s[20:21], v[38:39] op_sel_hi:[1,0,1] neg_lo:[0,0,1] neg_hi:[0,0,1]
	v_mov_b32_e32 v32, v88
	v_mov_b32_e32 v33, v91
	v_pk_add_f32 v[24:25], v[20:21], v[24:25]
	;; [unrolled: 6-line block ×3, first 2 shown]
	v_pk_fma_f32 v[96:97], v[30:31], s[22:23], v[82:83] op_sel_hi:[1,0,1]
	v_pk_fma_f32 v[98:99], v[30:31], s[22:23], v[82:83] op_sel_hi:[1,0,1] neg_lo:[0,0,1] neg_hi:[0,0,1]
	v_pk_add_f32 v[24:25], v[42:43], v[24:25]
	v_pk_mul_f32 v[42:43], v[102:103], s[30:31] op_sel:[1,0] op_sel_hi:[0,0]
	v_mov_b32_e32 v32, v96
	v_mov_b32_e32 v33, v99
	v_pk_fma_f32 v[108:109], v[28:29], s[2:3], v[42:43] op_sel_hi:[1,0,1]
	v_pk_fma_f32 v[110:111], v[28:29], s[2:3], v[42:43] op_sel_hi:[1,0,1] neg_lo:[0,0,1] neg_hi:[0,0,1]
	v_pk_add_f32 v[32:33], v[20:21], v[32:33]
	v_mov_b32_e32 v42, v108
	v_mov_b32_e32 v43, v111
	v_pk_add_f32 v[32:33], v[42:43], v[32:33]
	v_pk_mul_f32 v[42:43], v[104:105], s[34:35] op_sel:[1,0] op_sel_hi:[0,0]
	v_pk_fma_f32 v[112:113], v[26:27], s[18:19], v[42:43] op_sel_hi:[1,0,1]
	v_pk_fma_f32 v[114:115], v[26:27], s[18:19], v[42:43] op_sel_hi:[1,0,1] neg_lo:[0,0,1] neg_hi:[0,0,1]
	v_mov_b32_e32 v42, v112
	v_mov_b32_e32 v43, v115
	v_pk_add_f32 v[32:33], v[42:43], v[32:33]
	v_pk_mul_f32 v[42:43], v[106:107], s[16:17] op_sel:[1,0] op_sel_hi:[0,0]
	v_pk_fma_f32 v[120:121], v[22:23], s[14:15], v[42:43] op_sel_hi:[1,0,1]
	v_pk_fma_f32 v[122:123], v[22:23], s[14:15], v[42:43] op_sel_hi:[1,0,1] neg_lo:[0,0,1] neg_hi:[0,0,1]
	v_mov_b32_e32 v82, v38
	v_mov_b32_e32 v83, v49
	;; [unrolled: 1-line block ×4, first 2 shown]
	v_pk_add_f32 v[128:129], v[40:41], v[34:35] neg_lo:[0,1] neg_hi:[0,1]
	v_pk_add_f32 v[24:25], v[82:83], v[24:25]
	v_pk_add_f32 v[42:43], v[42:43], v[32:33]
	;; [unrolled: 1-line block ×3, first 2 shown]
	v_pk_mul_f32 v[82:83], v[128:129], s[36:37] op_sel:[1,0] op_sel_hi:[0,0]
	v_pk_fma_f32 v[124:125], v[32:33], s[20:21], v[82:83] op_sel_hi:[1,0,1]
	v_pk_fma_f32 v[126:127], v[32:33], s[20:21], v[82:83] op_sel_hi:[1,0,1] neg_lo:[0,0,1] neg_hi:[0,0,1]
	v_mov_b32_e32 v82, v124
	v_mov_b32_e32 v83, v127
	v_pk_add_f32 v[82:83], v[82:83], v[42:43]
	v_pk_mul_f32 v[42:43], v[128:129], s[38:39] op_sel:[1,0] op_sel_hi:[0,0]
	v_pk_fma_f32 v[116:117], v[32:33], s[22:23], v[42:43] op_sel_hi:[1,0,1]
	v_pk_fma_f32 v[118:119], v[32:33], s[22:23], v[42:43] op_sel_hi:[1,0,1] neg_lo:[0,0,1] neg_hi:[0,0,1]
	v_mov_b32_e32 v42, v116
	v_mov_b32_e32 v43, v119
	v_pk_add_f32 v[42:43], v[42:43], v[24:25]
	v_mov_b32_e32 v25, 0
	s_and_saveexec_b64 s[30:31], vcc
	s_cbranch_execz .LBB0_7
; %bb.6:
	v_pk_add_f32 v[52:53], v[20:21], v[52:53]
	v_mov_b32_e32 v99, v97
	v_pk_add_f32 v[52:53], v[52:53], v[54:55]
	v_mov_b32_e32 v111, v109
	;; [unrolled: 2-line block ×3, first 2 shown]
	v_pk_add_f32 v[52:53], v[52:53], v[58:59]
	v_mul_u32_u24_e32 v24, 0x63, v131
	v_pk_add_f32 v[40:41], v[52:53], v[40:41]
	v_mov_b32_e32 v123, v121
	v_pk_add_f32 v[34:35], v[40:41], v[34:35]
	v_add_u32_sdwa v24, v24, v132 dst_sel:DWORD dst_unused:UNUSED_PAD src0_sel:DWORD src1_sel:BYTE_0
	v_pk_add_f32 v[34:35], v[34:35], v[44:45]
	v_mov_b32_e32 v127, v125
	v_pk_add_f32 v[34:35], v[34:35], v[46:47]
	v_mov_b32_e32 v134, v101
	;; [unrolled: 2-line block ×3, first 2 shown]
	v_pk_add_f32 v[34:35], v[34:35], v[36:37]
	v_pk_add_f32 v[36:37], v[20:21], v[98:99]
	v_lshl_add_u32 v24, v24, 3, v130
	v_pk_add_f32 v[36:37], v[110:111], v[36:37]
	v_mov_b32_e32 v95, v93
	v_pk_add_f32 v[36:37], v[114:115], v[36:37]
	v_mov_b32_e32 v100, v103
	;; [unrolled: 2-line block ×3, first 2 shown]
	v_pk_add_f32 v[36:37], v[126:127], v[36:37]
	ds_write2_b64 v24, v[34:35], v[36:37] offset1:9
	v_pk_add_f32 v[34:35], v[20:21], v[94:95]
	v_mov_b32_e32 v91, v89
	v_pk_mul_f32 v[36:37], v[134:135], s[34:35] op_sel_hi:[1,0]
	v_pk_add_f32 v[34:35], v[90:91], v[34:35]
	v_mov_b32_e32 v87, v85
	v_mov_b32_e32 v49, v39
	v_pk_fma_f32 v[38:39], v[30:31], s[18:19], v[36:37] op_sel_hi:[1,0,1] neg_lo:[0,0,1] neg_hi:[0,0,1]
	v_pk_fma_f32 v[36:37], v[30:31], s[18:19], v[36:37] op_sel_hi:[1,0,1]
	v_pk_mul_f32 v[44:45], v[100:101], s[28:29] op_sel_hi:[1,0]
	v_pk_add_f32 v[34:35], v[86:87], v[34:35]
	v_mov_b32_e32 v40, v38
	v_mov_b32_e32 v41, v37
	v_pk_fma_f32 v[46:47], v[28:29], s[20:21], v[44:45] op_sel_hi:[1,0,1] neg_lo:[0,0,1] neg_hi:[0,0,1]
	v_pk_fma_f32 v[44:45], v[28:29], s[20:21], v[44:45] op_sel_hi:[1,0,1]
	v_mov_b32_e32 v102, v105
	v_mov_b32_e32 v103, v104
	v_pk_add_f32 v[34:35], v[48:49], v[34:35]
	v_pk_add_f32 v[40:41], v[20:21], v[40:41]
	v_mov_b32_e32 v48, v46
	v_mov_b32_e32 v49, v45
	s_mov_b32 s28, 0x3f68dda4
	v_pk_add_f32 v[40:41], v[48:49], v[40:41]
	v_pk_mul_f32 v[48:49], v[102:103], s[28:29] op_sel_hi:[1,0]
	v_mov_b32_e32 v104, v107
	v_pk_fma_f32 v[50:51], v[26:27], s[2:3], v[48:49] op_sel_hi:[1,0,1] neg_lo:[0,0,1] neg_hi:[0,0,1]
	v_pk_fma_f32 v[48:49], v[26:27], s[2:3], v[48:49] op_sel_hi:[1,0,1]
	v_mov_b32_e32 v105, v106
	v_mov_b32_e32 v52, v50
	;; [unrolled: 1-line block ×3, first 2 shown]
	v_pk_add_f32 v[40:41], v[52:53], v[40:41]
	v_pk_mul_f32 v[52:53], v[104:105], s[26:27] op_sel_hi:[1,0]
	v_mov_b32_e32 v106, v129
	v_pk_fma_f32 v[54:55], v[22:23], s[22:23], v[52:53] op_sel_hi:[1,0,1] neg_lo:[0,0,1] neg_hi:[0,0,1]
	v_pk_fma_f32 v[52:53], v[22:23], s[22:23], v[52:53] op_sel_hi:[1,0,1]
	v_mov_b32_e32 v107, v128
	v_mov_b32_e32 v56, v54
	;; [unrolled: 1-line block ×3, first 2 shown]
	v_pk_add_f32 v[40:41], v[56:57], v[40:41]
	v_pk_mul_f32 v[56:57], v[106:107], s[16:17] op_sel_hi:[1,0]
	v_mov_b32_e32 v119, v117
	v_pk_fma_f32 v[58:59], v[32:33], s[14:15], v[56:57] op_sel_hi:[1,0,1] neg_lo:[0,0,1] neg_hi:[0,0,1]
	v_pk_fma_f32 v[56:57], v[32:33], s[14:15], v[56:57] op_sel_hi:[1,0,1]
	v_mov_b32_e32 v84, v58
	v_mov_b32_e32 v85, v57
	v_pk_add_f32 v[34:35], v[118:119], v[34:35]
	v_pk_add_f32 v[40:41], v[84:85], v[40:41]
	ds_write2_b64 v24, v[34:35], v[40:41] offset0:18 offset1:27
	v_pk_mul_f32 v[34:35], v[134:135], s[16:17] op_sel_hi:[1,0]
	v_pk_mul_f32 v[86:87], v[100:101], s[24:25] op_sel_hi:[1,0]
	v_pk_fma_f32 v[40:41], v[30:31], s[14:15], v[34:35] op_sel_hi:[1,0,1] neg_lo:[0,0,1] neg_hi:[0,0,1]
	v_pk_fma_f32 v[34:35], v[30:31], s[14:15], v[34:35] op_sel_hi:[1,0,1]
	v_mov_b32_e32 v84, v40
	v_mov_b32_e32 v85, v35
	v_pk_fma_f32 v[88:89], v[28:29], s[18:19], v[86:87] op_sel_hi:[1,0,1] neg_lo:[0,0,1] neg_hi:[0,0,1]
	v_pk_fma_f32 v[86:87], v[28:29], s[18:19], v[86:87] op_sel_hi:[1,0,1]
	v_pk_add_f32 v[84:85], v[20:21], v[84:85]
	v_mov_b32_e32 v90, v88
	v_mov_b32_e32 v91, v87
	v_pk_add_f32 v[84:85], v[90:91], v[84:85]
	v_pk_mul_f32 v[90:91], v[102:103], s[26:27] op_sel_hi:[1,0]
	v_pk_mul_f32 v[100:101], v[100:101], s[38:39] op_sel_hi:[1,0]
	v_pk_fma_f32 v[92:93], v[26:27], s[22:23], v[90:91] op_sel_hi:[1,0,1] neg_lo:[0,0,1] neg_hi:[0,0,1]
	v_pk_fma_f32 v[90:91], v[26:27], s[22:23], v[90:91] op_sel_hi:[1,0,1]
	v_mov_b32_e32 v94, v92
	v_mov_b32_e32 v95, v91
	v_pk_add_f32 v[84:85], v[94:95], v[84:85]
	v_pk_mul_f32 v[94:95], v[104:105], s[36:37] op_sel_hi:[1,0]
	v_pk_fma_f32 v[114:115], v[28:29], s[22:23], v[100:101] op_sel_hi:[1,0,1] neg_lo:[0,0,1] neg_hi:[0,0,1]
	v_pk_fma_f32 v[96:97], v[22:23], s[20:21], v[94:95] op_sel_hi:[1,0,1] neg_lo:[0,0,1] neg_hi:[0,0,1]
	v_pk_fma_f32 v[94:95], v[22:23], s[20:21], v[94:95] op_sel_hi:[1,0,1]
	v_mov_b32_e32 v98, v96
	v_mov_b32_e32 v99, v95
	v_pk_add_f32 v[84:85], v[98:99], v[84:85]
	v_pk_mul_f32 v[98:99], v[106:107], s[28:29] op_sel_hi:[1,0]
	v_pk_fma_f32 v[28:29], v[28:29], s[22:23], v[100:101] op_sel_hi:[1,0,1]
	v_pk_fma_f32 v[108:109], v[32:33], s[2:3], v[98:99] op_sel_hi:[1,0,1] neg_lo:[0,0,1] neg_hi:[0,0,1]
	v_pk_fma_f32 v[98:99], v[32:33], s[2:3], v[98:99] op_sel_hi:[1,0,1]
	v_mov_b32_e32 v110, v108
	v_mov_b32_e32 v111, v99
	v_pk_add_f32 v[84:85], v[110:111], v[84:85]
	v_pk_mul_f32 v[110:111], v[134:135], s[36:37] op_sel_hi:[1,0]
	v_mov_b32_e32 v100, v114
	v_pk_fma_f32 v[112:113], v[30:31], s[20:21], v[110:111] op_sel_hi:[1,0,1] neg_lo:[0,0,1] neg_hi:[0,0,1]
	v_pk_fma_f32 v[30:31], v[30:31], s[20:21], v[110:111] op_sel_hi:[1,0,1]
	v_mov_b32_e32 v110, v112
	v_mov_b32_e32 v111, v31
	v_pk_add_f32 v[110:111], v[20:21], v[110:111]
	v_mov_b32_e32 v101, v29
	v_pk_mul_f32 v[102:103], v[102:103], s[16:17] op_sel_hi:[1,0]
	v_pk_add_f32 v[100:101], v[100:101], v[110:111]
	v_pk_fma_f32 v[110:111], v[26:27], s[14:15], v[102:103] op_sel_hi:[1,0,1] neg_lo:[0,0,1] neg_hi:[0,0,1]
	v_pk_fma_f32 v[26:27], v[26:27], s[14:15], v[102:103] op_sel_hi:[1,0,1]
	v_mov_b32_e32 v102, v110
	v_mov_b32_e32 v103, v27
	;; [unrolled: 1-line block ×3, first 2 shown]
	v_pk_add_f32 v[100:101], v[102:103], v[100:101]
	v_pk_mul_f32 v[102:103], v[104:105], s[28:29] op_sel_hi:[1,0]
	v_pk_add_f32 v[30:31], v[20:21], v[30:31]
	v_mov_b32_e32 v29, v115
	v_pk_fma_f32 v[104:105], v[22:23], s[2:3], v[102:103] op_sel_hi:[1,0,1] neg_lo:[0,0,1] neg_hi:[0,0,1]
	v_pk_fma_f32 v[22:23], v[22:23], s[2:3], v[102:103] op_sel_hi:[1,0,1]
	v_pk_add_f32 v[28:29], v[28:29], v[30:31]
	v_mov_b32_e32 v27, v111
	v_mov_b32_e32 v103, v23
	v_pk_add_f32 v[26:27], v[26:27], v[28:29]
	v_mov_b32_e32 v23, v105
	v_mov_b32_e32 v35, v41
	;; [unrolled: 1-line block ×4, first 2 shown]
	v_pk_add_f32 v[22:23], v[22:23], v[26:27]
	v_pk_add_f32 v[26:27], v[20:21], v[34:35]
	v_mov_b32_e32 v87, v89
	v_pk_add_f32 v[20:21], v[20:21], v[36:37]
	v_mov_b32_e32 v45, v47
	v_pk_add_f32 v[100:101], v[102:103], v[100:101]
	v_pk_mul_f32 v[102:103], v[106:107], s[34:35] op_sel_hi:[1,0]
	v_pk_add_f32 v[26:27], v[86:87], v[26:27]
	v_mov_b32_e32 v91, v93
	v_pk_add_f32 v[20:21], v[44:45], v[20:21]
	v_mov_b32_e32 v49, v51
	v_pk_fma_f32 v[106:107], v[32:33], s[18:19], v[102:103] op_sel_hi:[1,0,1] neg_lo:[0,0,1] neg_hi:[0,0,1]
	v_pk_fma_f32 v[32:33], v[32:33], s[18:19], v[102:103] op_sel_hi:[1,0,1]
	v_pk_add_f32 v[26:27], v[90:91], v[26:27]
	v_mov_b32_e32 v95, v97
	v_pk_add_f32 v[20:21], v[48:49], v[20:21]
	v_mov_b32_e32 v53, v55
	v_mov_b32_e32 v102, v106
	;; [unrolled: 1-line block ×4, first 2 shown]
	v_pk_add_f32 v[26:27], v[94:95], v[26:27]
	v_mov_b32_e32 v99, v109
	v_pk_add_f32 v[20:21], v[52:53], v[20:21]
	v_mov_b32_e32 v57, v59
	v_pk_add_f32 v[100:101], v[102:103], v[100:101]
	v_pk_add_f32 v[22:23], v[32:33], v[22:23]
	;; [unrolled: 1-line block ×4, first 2 shown]
	ds_write2_b64 v24, v[84:85], v[100:101] offset0:36 offset1:45
	ds_write2_b64 v24, v[22:23], v[26:27] offset0:54 offset1:63
	;; [unrolled: 1-line block ×3, first 2 shown]
	ds_write_b64 v24, v[82:83] offset:720
.LBB0_7:
	s_or_b64 exec, exec, s[30:31]
	s_mov_b64 s[2:3], 0xc6
	v_lshlrev_b32_e32 v88, 4, v60
	v_lshlrev_b32_e32 v24, 3, v60
	s_mov_b32 s14, 0xa57f
	v_lshl_add_u64 v[50:51], v[60:61], 0, s[2:3]
	s_waitcnt lgkmcnt(0)
	s_barrier
	global_load_dwordx4 v[20:23], v88, s[10:11] offset:720
	v_lshl_add_u64 v[40:41], s[8:9], 0, v[24:25]
	v_mul_u32_u24_sdwa v24, v50, s14 dst_sel:DWORD dst_unused:UNUSED_PAD src0_sel:WORD_0 src1_sel:DWORD
	v_lshrrev_b32_e32 v24, 22, v24
	v_mul_lo_u16_e32 v24, 0x63, v24
	v_sub_u16_e32 v51, v50, v24
	v_lshlrev_b16_e32 v24, 4, v51
	v_lshl_add_u64 v[24:25], s[10:11], 0, v[24:25]
	global_load_dwordx4 v[24:27], v[24:25], off offset:720
	ds_read2_b64 v[28:31], v67 offset1:99
	v_add_u32_e32 v106, 0x400, v67
	v_add_u32_e32 v45, 0x1000, v67
	;; [unrolled: 1-line block ×3, first 2 shown]
	ds_read_b64 v[52:53], v67 offset:6336
	ds_read2_b64 v[32:35], v106 offset0:70 offset1:169
	ds_read2_b64 v[36:39], v45 offset0:82 offset1:181
	ds_read2_b64 v[46:49], v44 offset0:140 offset1:239
	s_mov_b32 s8, 0x3f5db3d7
	s_waitcnt lgkmcnt(0)
	s_barrier
	v_lshl_add_u32 v61, v51, 3, v130
	v_add_u32_e32 v51, 0x1000, v61
	s_mov_b64 s[2:3], 0x1bd8
	v_lshl_add_u32 v108, v60, 3, v130
	s_mov_b32 s14, 0x3f248dbb
	s_mov_b32 s15, 0xbf248dbb
	;; [unrolled: 1-line block ×4, first 2 shown]
	s_mov_b32 s20, -0.5
	s_mov_b32 s21, 0xbf708fb2
	s_waitcnt vmcnt(1)
	v_pk_mul_f32 v[54:55], v[34:35], v[20:21] op_sel:[0,1]
	v_mov_b32_e32 v56, v23
	v_pk_mul_f32 v[58:59], v[46:47], v[20:21] op_sel:[0,1]
	v_pk_fma_f32 v[84:85], v[34:35], v[20:21], v[54:55] op_sel:[0,0,1] op_sel_hi:[1,1,0] neg_lo:[0,0,1] neg_hi:[0,0,1]
	v_pk_fma_f32 v[34:35], v[34:35], v[20:21], v[54:55] op_sel:[0,0,1] op_sel_hi:[1,0,0]
	v_pk_mul_f32 v[54:55], v[36:37], v[56:57] op_sel_hi:[1,0]
	v_pk_fma_f32 v[86:87], v[46:47], v[20:21], v[58:59] op_sel:[0,0,1] op_sel_hi:[1,1,0] neg_lo:[0,0,1] neg_hi:[0,0,1]
	v_pk_fma_f32 v[46:47], v[46:47], v[20:21], v[58:59] op_sel:[0,0,1] op_sel_hi:[1,0,0]
	v_pk_mul_f32 v[56:57], v[38:39], v[56:57] op_sel_hi:[1,0]
	v_mov_b32_e32 v85, v35
	v_pk_fma_f32 v[34:35], v[36:37], v[22:23], v[54:55] op_sel:[0,0,1] op_sel_hi:[1,1,0] neg_lo:[0,0,1] neg_hi:[0,0,1]
	v_pk_fma_f32 v[36:37], v[36:37], v[22:23], v[54:55] op_sel:[0,0,1] op_sel_hi:[1,0,0]
	v_mov_b32_e32 v87, v47
	v_pk_fma_f32 v[46:47], v[38:39], v[22:23], v[56:57] op_sel:[0,0,1] op_sel_hi:[1,1,0] neg_lo:[0,0,1] neg_hi:[0,0,1]
	v_pk_fma_f32 v[38:39], v[38:39], v[22:23], v[56:57] op_sel:[0,0,1] op_sel_hi:[1,0,0]
	v_mov_b32_e32 v35, v37
	v_pk_add_f32 v[36:37], v[28:29], v[84:85]
	v_mov_b32_e32 v47, v39
	v_pk_add_f32 v[38:39], v[30:31], v[86:87]
	v_pk_add_f32 v[36:37], v[36:37], v[34:35]
	;; [unrolled: 1-line block ×3, first 2 shown]
	v_pk_add_f32 v[34:35], v[84:85], v[34:35] neg_lo:[0,1] neg_hi:[0,1]
	v_pk_add_f32 v[56:57], v[86:87], v[46:47]
	v_pk_add_f32 v[58:59], v[86:87], v[46:47] neg_lo:[0,1] neg_hi:[0,1]
	v_pk_add_f32 v[38:39], v[38:39], v[46:47]
	v_pk_fma_f32 v[28:29], v[54:55], 0.5, v[28:29] op_sel_hi:[1,0,1] neg_lo:[1,0,0] neg_hi:[1,0,0]
	v_pk_mul_f32 v[34:35], v[34:35], s[8:9] op_sel_hi:[1,0]
	v_pk_fma_f32 v[30:31], v[56:57], 0.5, v[30:31] op_sel_hi:[1,0,1] neg_lo:[1,0,0] neg_hi:[1,0,0]
	v_pk_mul_f32 v[46:47], v[58:59], s[8:9] op_sel_hi:[1,0]
	v_pk_add_f32 v[54:55], v[28:29], v[34:35] op_sel:[0,1] op_sel_hi:[1,0]
	v_pk_add_f32 v[28:29], v[28:29], v[34:35] op_sel:[0,1] op_sel_hi:[1,0] neg_lo:[0,1] neg_hi:[0,1]
	v_pk_add_f32 v[34:35], v[30:31], v[46:47] op_sel:[0,1] op_sel_hi:[1,0] neg_lo:[0,1] neg_hi:[0,1]
	v_pk_add_f32 v[30:31], v[30:31], v[46:47] op_sel:[0,1] op_sel_hi:[1,0]
	s_waitcnt vmcnt(0)
	v_pk_mul_f32 v[46:47], v[48:49], v[24:25] op_sel:[0,1]
	v_mov_b32_e32 v56, v27
	v_mov_b32_e32 v58, v54
	;; [unrolled: 1-line block ×7, first 2 shown]
	v_pk_fma_f32 v[30:31], v[48:49], v[24:25], v[46:47] op_sel:[0,0,1] op_sel_hi:[1,1,0] neg_lo:[0,0,1] neg_hi:[0,0,1]
	v_pk_fma_f32 v[46:47], v[48:49], v[24:25], v[46:47] op_sel:[0,0,1] op_sel_hi:[1,0,0]
	v_pk_mul_f32 v[48:49], v[52:53], v[56:57] op_sel_hi:[1,0]
	ds_write2_b64 v67, v[36:37], v[58:59] offset1:99
	ds_write2_b64 v106, v[28:29], v[38:39] offset0:70 offset1:169
	ds_write2_b64 v44, v[54:55], v[34:35] offset0:140 offset1:239
	v_pk_fma_f32 v[28:29], v[52:53], v[26:27], v[48:49] op_sel:[0,0,1] op_sel_hi:[1,1,0] neg_lo:[0,0,1] neg_hi:[0,0,1]
	v_pk_fma_f32 v[34:35], v[52:53], v[26:27], v[48:49] op_sel:[0,0,1] op_sel_hi:[1,0,0]
	v_mov_b32_e32 v31, v47
	v_mov_b32_e32 v29, v35
	v_pk_add_f32 v[34:35], v[32:33], v[30:31]
	v_pk_add_f32 v[36:37], v[30:31], v[28:29]
	v_pk_add_f32 v[30:31], v[30:31], v[28:29] neg_lo:[0,1] neg_hi:[0,1]
	v_pk_fma_f32 v[32:33], v[36:37], 0.5, v[32:33] op_sel_hi:[1,0,1] neg_lo:[1,0,0] neg_hi:[1,0,0]
	v_pk_mul_f32 v[30:31], v[30:31], s[8:9] op_sel_hi:[1,0]
	v_pk_add_f32 v[28:29], v[34:35], v[28:29]
	v_pk_add_f32 v[34:35], v[32:33], v[30:31] op_sel:[0,1] op_sel_hi:[1,0] neg_lo:[0,1] neg_hi:[0,1]
	v_pk_add_f32 v[30:31], v[32:33], v[30:31] op_sel:[0,1] op_sel_hi:[1,0]
	v_mov_b32_e32 v33, v35
	v_mov_b32_e32 v32, v30
	;; [unrolled: 1-line block ×3, first 2 shown]
	ds_write2_b64 v51, v[28:29], v[32:33] offset0:82 offset1:181
	ds_write_b64 v61, v[34:35] offset:6336
	v_add_u32_e32 v28, 0x630, v88
	s_waitcnt lgkmcnt(0)
	s_barrier
	global_load_dwordx4 v[36:39], v88, s[10:11] offset:2304
	global_load_dwordx4 v[32:35], v28, s[10:11] offset:2304
	v_lshlrev_b32_e32 v28, 4, v50
	global_load_dwordx4 v[28:31], v28, s[10:11] offset:2304
	ds_read2_b64 v[46:49], v106 offset0:70 offset1:169
	ds_read2_b64 v[50:53], v67 offset1:99
	ds_read2_b64 v[54:57], v44 offset0:140 offset1:239
	ds_read2_b64 v[84:87], v45 offset0:82 offset1:181
	ds_read_b64 v[88:89], v67 offset:6336
	s_movk_i32 s9, 0x1000
	v_lshl_add_u64 v[58:59], v[40:41], 0, s[2:3]
	s_mov_b32 s10, 0x3f441b7d
	s_waitcnt vmcnt(2) lgkmcnt(4)
	v_pk_mul_f32 v[90:91], v[48:49], v[36:37] op_sel:[0,1]
	v_mov_b32_e32 v92, v39
	s_waitcnt vmcnt(1) lgkmcnt(2)
	v_pk_mul_f32 v[94:95], v[54:55], v[32:33] op_sel:[0,1]
	v_mov_b32_e32 v96, v35
	s_waitcnt vmcnt(0)
	v_pk_mul_f32 v[98:99], v[56:57], v[28:29] op_sel:[0,1]
	v_mov_b32_e32 v100, v31
	v_pk_fma_f32 v[102:103], v[48:49], v[36:37], v[90:91] op_sel:[0,0,1] op_sel_hi:[1,1,0] neg_lo:[0,0,1] neg_hi:[0,0,1]
	v_pk_fma_f32 v[48:49], v[48:49], v[36:37], v[90:91] op_sel:[0,0,1] op_sel_hi:[1,0,0]
	s_waitcnt lgkmcnt(1)
	v_pk_mul_f32 v[90:91], v[84:85], v[92:93] op_sel_hi:[1,0]
	v_pk_fma_f32 v[92:93], v[54:55], v[32:33], v[94:95] op_sel:[0,0,1] op_sel_hi:[1,1,0] neg_lo:[0,0,1] neg_hi:[0,0,1]
	v_pk_fma_f32 v[54:55], v[54:55], v[32:33], v[94:95] op_sel:[0,0,1] op_sel_hi:[1,0,0]
	v_pk_mul_f32 v[94:95], v[86:87], v[96:97] op_sel_hi:[1,0]
	v_pk_fma_f32 v[96:97], v[56:57], v[28:29], v[98:99] op_sel:[0,0,1] op_sel_hi:[1,1,0] neg_lo:[0,0,1] neg_hi:[0,0,1]
	v_pk_fma_f32 v[56:57], v[56:57], v[28:29], v[98:99] op_sel:[0,0,1] op_sel_hi:[1,0,0]
	s_waitcnt lgkmcnt(0)
	v_pk_mul_f32 v[98:99], v[88:89], v[100:101] op_sel_hi:[1,0]
	v_mov_b32_e32 v103, v49
	v_pk_fma_f32 v[48:49], v[84:85], v[38:39], v[90:91] op_sel:[0,0,1] op_sel_hi:[1,1,0] neg_lo:[0,0,1] neg_hi:[0,0,1]
	v_pk_fma_f32 v[84:85], v[84:85], v[38:39], v[90:91] op_sel:[0,0,1] op_sel_hi:[1,0,0]
	v_mov_b32_e32 v93, v55
	v_pk_fma_f32 v[54:55], v[86:87], v[34:35], v[94:95] op_sel:[0,0,1] op_sel_hi:[1,1,0] neg_lo:[0,0,1] neg_hi:[0,0,1]
	v_pk_fma_f32 v[86:87], v[86:87], v[34:35], v[94:95] op_sel:[0,0,1] op_sel_hi:[1,0,0]
	;; [unrolled: 3-line block ×3, first 2 shown]
	v_mov_b32_e32 v49, v85
	v_pk_add_f32 v[84:85], v[50:51], v[102:103]
	v_mov_b32_e32 v55, v87
	v_pk_add_f32 v[86:87], v[52:53], v[92:93]
	;; [unrolled: 2-line block ×3, first 2 shown]
	v_pk_add_f32 v[84:85], v[84:85], v[48:49]
	v_pk_add_f32 v[90:91], v[102:103], v[48:49]
	v_pk_add_f32 v[48:49], v[102:103], v[48:49] neg_lo:[0,1] neg_hi:[0,1]
	v_pk_add_f32 v[86:87], v[86:87], v[54:55]
	v_pk_add_f32 v[88:89], v[88:89], v[56:57]
	;; [unrolled: 1-line block ×3, first 2 shown]
	v_pk_add_f32 v[54:55], v[92:93], v[54:55] neg_lo:[0,1] neg_hi:[0,1]
	v_pk_add_f32 v[92:93], v[96:97], v[56:57]
	v_pk_add_f32 v[56:57], v[96:97], v[56:57] neg_lo:[0,1] neg_hi:[0,1]
	v_pk_fma_f32 v[50:51], v[90:91], 0.5, v[50:51] op_sel_hi:[1,0,1] neg_lo:[1,0,0] neg_hi:[1,0,0]
	v_pk_mul_f32 v[48:49], v[48:49], s[8:9] op_sel_hi:[1,0]
	v_pk_fma_f32 v[52:53], v[94:95], 0.5, v[52:53] op_sel_hi:[1,0,1] neg_lo:[1,0,0] neg_hi:[1,0,0]
	v_pk_mul_f32 v[54:55], v[54:55], s[8:9] op_sel_hi:[1,0]
	v_pk_fma_f32 v[46:47], v[92:93], 0.5, v[46:47] op_sel_hi:[1,0,1] neg_lo:[1,0,0] neg_hi:[1,0,0]
	v_pk_mul_f32 v[56:57], v[56:57], s[8:9] op_sel_hi:[1,0]
	v_pk_add_f32 v[90:91], v[50:51], v[48:49] op_sel:[0,1] op_sel_hi:[1,0]
	v_pk_add_f32 v[48:49], v[50:51], v[48:49] op_sel:[0,1] op_sel_hi:[1,0] neg_lo:[0,1] neg_hi:[0,1]
	v_pk_add_f32 v[50:51], v[52:53], v[54:55] op_sel:[0,1] op_sel_hi:[1,0]
	v_pk_add_f32 v[52:53], v[52:53], v[54:55] op_sel:[0,1] op_sel_hi:[1,0] neg_lo:[0,1] neg_hi:[0,1]
	;; [unrolled: 2-line block ×3, first 2 shown]
	v_mov_b32_e32 v56, v90
	v_mov_b32_e32 v57, v49
	;; [unrolled: 1-line block ×9, first 2 shown]
	ds_write_b64 v67, v[56:57] offset:2376
	ds_write_b64 v67, v[48:49] offset:4752
	ds_write2_b64 v67, v[84:85], v[86:87] offset1:99
	ds_write_b64 v108, v[90:91] offset:3168
	ds_write_b64 v108, v[52:53] offset:5544
	;; [unrolled: 1-line block ×5, first 2 shown]
	v_add_co_u32_e64 v46, s[2:3], s9, v40
	s_waitcnt lgkmcnt(0)
	s_nop 0
	v_addc_co_u32_e64 v47, s[2:3], 0, v41, s[2:3]
	s_movk_i32 s2, 0x2000
	s_barrier
	global_load_dwordx2 v[88:89], v[46:47], off offset:3032
	global_load_dwordx2 v[90:91], v[58:59], off offset:792
	;; [unrolled: 1-line block ×5, first 2 shown]
	v_add_co_u32_e64 v46, s[2:3], s2, v40
	s_nop 1
	v_addc_co_u32_e64 v47, s[2:3], 0, v41, s[2:3]
	s_movk_i32 s2, 0x3000
	s_nop 0
	v_add_co_u32_e64 v40, s[2:3], s2, v40
	s_nop 1
	v_addc_co_u32_e64 v41, s[2:3], 0, v41, s[2:3]
	global_load_dwordx2 v[98:99], v[46:47], off offset:3688
	global_load_dwordx2 v[100:101], v[40:41], off offset:384
	;; [unrolled: 1-line block ×4, first 2 shown]
	ds_read2_b64 v[46:49], v67 offset1:99
	ds_read2_b64 v[50:53], v106 offset0:70 offset1:169
	ds_read2_b64 v[54:57], v44 offset0:140 offset1:239
	;; [unrolled: 1-line block ×3, first 2 shown]
	ds_read_b64 v[40:41], v67 offset:6336
	s_mov_b32 s2, 0x3eaf1d44
	s_mov_b32 s3, s8
	;; [unrolled: 1-line block ×3, first 2 shown]
	s_waitcnt vmcnt(8) lgkmcnt(4)
	v_mul_f32_e32 v58, v47, v89
	v_mul_f32_e32 v59, v46, v89
	s_waitcnt vmcnt(7)
	v_mul_f32_e32 v107, v49, v91
	v_mul_f32_e32 v89, v48, v91
	s_waitcnt vmcnt(6) lgkmcnt(3)
	v_mul_f32_e32 v109, v51, v93
	v_mul_f32_e32 v91, v50, v93
	s_waitcnt vmcnt(5)
	v_mul_f32_e32 v110, v53, v95
	v_mul_f32_e32 v93, v52, v95
	s_waitcnt vmcnt(4) lgkmcnt(2)
	v_mul_f32_e32 v111, v55, v97
	v_mul_f32_e32 v95, v54, v97
	v_fma_f32 v58, v46, v88, -v58
	v_fmac_f32_e32 v59, v47, v88
	v_fma_f32 v88, v48, v90, -v107
	s_waitcnt vmcnt(3) lgkmcnt(1)
	v_mul_f32_e32 v113, v85, v99
	s_waitcnt vmcnt(2)
	v_mul_f32_e32 v114, v87, v101
	s_waitcnt vmcnt(1)
	v_mul_f32_e32 v112, v57, v103
	v_mul_f32_e32 v97, v56, v103
	;; [unrolled: 1-line block ×4, first 2 shown]
	s_waitcnt vmcnt(0) lgkmcnt(0)
	v_mul_f32_e32 v115, v41, v105
	v_mul_f32_e32 v101, v40, v105
	v_fmac_f32_e32 v89, v49, v90
	v_fma_f32 v90, v50, v92, -v109
	v_fmac_f32_e32 v91, v51, v92
	v_fma_f32 v92, v52, v94, -v110
	;; [unrolled: 2-line block ×7, first 2 shown]
	v_fmac_f32_e32 v101, v41, v104
	ds_write2_b64 v67, v[58:59], v[88:89] offset1:99
	ds_write2_b64 v106, v[90:91], v[92:93] offset0:70 offset1:169
	ds_write2_b64 v44, v[94:95], v[96:97] offset0:140 offset1:239
	;; [unrolled: 1-line block ×3, first 2 shown]
	ds_write_b64 v67, v[100:101] offset:6336
	s_waitcnt lgkmcnt(0)
	s_barrier
	ds_read2_b64 v[52:55], v67 offset1:99
	ds_read2_b64 v[48:51], v106 offset0:70 offset1:169
	ds_read_b64 v[88:89], v67 offset:6336
	ds_read2_b64 v[56:59], v45 offset0:82 offset1:181
	ds_read2_b64 v[84:87], v44 offset0:140 offset1:239
	s_waitcnt lgkmcnt(0)
	v_mov_b32_e32 v40, v49
	v_sub_f32_e32 v93, v54, v88
	v_add_f32_e32 v45, v49, v59
	v_mov_b32_e32 v46, v59
	v_mov_b32_e32 v49, v84
	;; [unrolled: 1-line block ×3, first 2 shown]
	v_pk_add_f32 v[104:105], v[48:49], v[58:59] neg_lo:[0,1] neg_hi:[0,1]
	v_mov_b32_e32 v41, v51
	v_mov_b32_e32 v47, v57
	;; [unrolled: 1-line block ×3, first 2 shown]
	v_add_f32_e32 v90, v54, v88
	v_sub_f32_e32 v54, v50, v56
	v_pk_add_f32 v[96:97], v[40:41], v[46:47] neg_lo:[0,1] neg_hi:[0,1]
	v_pk_mul_f32 v[40:41], v[92:93], s[14:15] op_sel_hi:[1,0]
	v_mov_b32_e32 v46, v93
	v_mov_b32_e32 v47, v104
	v_mul_f32_e32 v94, 0x3f5db3d7, v54
	v_mov_b32_e32 v54, v85
	v_mov_b32_e32 v88, v87
	v_pk_fma_f32 v[100:101], v[46:47], s[18:19], v[40:41] op_sel_hi:[1,0,1] neg_lo:[0,0,1] neg_hi:[0,0,1]
	v_pk_fma_f32 v[40:41], v[46:47], s[18:19], v[40:41] op_sel_hi:[1,0,1]
	v_pk_add_f32 v[106:107], v[54:55], v[88:89]
	v_pk_add_f32 v[46:47], v[100:101], v[94:95] neg_lo:[0,1] neg_hi:[0,1]
	v_pk_add_f32 v[40:41], v[40:41], v[94:95] op_sel_hi:[1,0]
	v_mov_b32_e32 v44, v51
	v_mov_b32_e32 v102, v56
	v_mov_b32_e32 v47, v41
	v_mov_b32_e32 v56, v57
	v_mov_b32_e32 v57, v107
	v_pk_fma_f32 v[40:41], v[104:105], s[2:3], v[46:47] op_sel_hi:[1,0,1]
	v_pk_fma_f32 v[46:47], v[106:107], s[10:11], v[52:53] op_sel:[0,0,1] op_sel_hi:[1,0,1]
	v_mov_b32_e32 v100, v107
	v_mov_b32_e32 v101, v45
	v_pk_add_f32 v[56:57], v[44:45], v[56:57]
	v_pk_fma_f32 v[46:47], v[100:101], s[8:9], v[46:47] op_sel_hi:[1,0,1]
	v_mul_f32_e32 v44, 0.5, v56
	v_mov_b32_e32 v100, v45
	v_mov_b32_e32 v101, v106
	v_pk_add_f32 v[46:47], v[46:47], v[44:45] op_sel_hi:[1,0] neg_lo:[0,1] neg_hi:[0,1]
	v_add_f32_e32 v51, v105, v93
	v_pk_fma_f32 v[46:47], v[100:101], s[16:17], v[46:47] op_sel_hi:[1,0,1] neg_lo:[1,0,0] neg_hi:[1,0,0]
	v_sub_f32_e32 v51, v51, v104
	v_pk_add_f32 v[100:101], v[40:41], v[46:47]
	v_mul_f32_e32 v111, 0x3f5db3d7, v51
	v_fma_f32 v47, -2.0, v40, v100
	v_mov_b32_e32 v51, v106
	v_mul_f32_e32 v40, 0x3f7c1c5c, v105
	v_pk_add_f32 v[58:59], v[48:49], v[58:59]
	v_mul_f32_e32 v103, 0x3e31d0d4, v90
	v_pk_add_f32 v[112:113], v[50:51], v[56:57]
	v_fma_f32 v44, v104, s15, -v40
	v_fmamk_f32 v110, v45, 0x3f441b7d, v53
	v_mov_b32_e32 v45, v56
	v_mov_b32_e32 v95, v53
	v_fmamk_f32 v51, v59, 0x3f441b7d, v52
	v_pk_mul_f32 v[98:99], v[96:97], s[2:3]
	s_mov_b32 s3, 0.5
	v_pk_add_f32 v[44:45], v[44:45], v[94:95]
	v_mov_b32_e32 v112, v93
	v_pk_add_f32 v[54:55], v[54:55], v[88:89] neg_lo:[0,1] neg_hi:[0,1]
	v_pk_add_f32 v[48:49], v[50:51], v[102:103]
	v_pk_fma_f32 v[92:93], v[112:113], s[2:3], v[44:45]
	v_pk_fma_f32 v[44:45], v[112:113], s[2:3], v[44:45] neg_lo:[1,0,0] neg_hi:[1,0,0]
	v_mul_f32_e32 v40, 0xbf248dbb, v54
	v_mul_f32_e32 v95, 0.5, v48
	v_mov_b32_e32 v94, v52
	v_fmac_f32_e32 v110, 0x3e31d0d4, v106
	v_fmac_f32_e32 v40, 0x3f7c1c5c, v55
	v_add_f32_e32 v44, v54, v55
	v_pk_add_f32 v[50:51], v[48:49], v[52:53]
	v_pk_add_f32 v[102:103], v[48:49], v[94:95] neg_lo:[0,1] neg_hi:[0,1]
	v_add_f32_e32 v106, v58, v90
	v_fmac_f32_e32 v110, -0.5, v56
	v_sub_f32_e32 v40, v40, v99
	v_sub_f32_e32 v44, v44, v96
	v_mov_b32_e32 v51, v103
	v_add_f32_e32 v102, v59, v106
	v_mov_b32_e32 v103, v58
	v_fmac_f32_e32 v110, 0xbf708fb2, v107
	v_add_f32_e32 v89, v98, v40
	v_mul_f32_e32 v88, 0x3f5db3d7, v44
	v_pk_fma_f32 v[50:51], v[102:103], s[20:21], v[50:51]
	v_mov_b32_e32 v49, v56
	v_mov_b32_e32 v107, v57
	;; [unrolled: 1-line block ×3, first 2 shown]
	v_pk_add_f32 v[50:51], v[50:51], v[88:89] neg_lo:[0,1] neg_hi:[0,1]
	v_mov_b32_e32 v97, v54
	v_pk_add_f32 v[48:49], v[48:49], v[106:107]
	v_fma_f32 v41, -2.0, v41, v101
	v_pk_add_f32 v[104:105], v[92:93], v[110:111]
	v_mov_b32_e32 v40, v55
	v_pk_fma_f32 v[102:103], v[88:89], 2.0, v[50:51] op_sel_hi:[1,0,1]
	v_mov_b32_e32 v88, v55
	v_mov_b32_e32 v89, v96
	v_pk_mul_f32 v[96:97], v[96:97], s[18:19] op_sel_hi:[1,0]
	v_pk_add_f32 v[48:49], v[84:85], v[48:49]
	v_fma_f32 v45, -2.0, v111, v105
	v_pk_fma_f32 v[110:111], v[40:41], s[14:15], v[96:97]
	v_pk_fma_f32 v[88:89], v[88:89], s[14:15], v[96:97] neg_lo:[0,0,1] neg_hi:[0,0,1]
	v_pk_add_f32 v[48:49], v[86:87], v[48:49]
	v_mov_b32_e32 v91, v58
	v_mov_b32_e32 v111, v89
	v_pk_add_f32 v[48:49], v[48:49], v[52:53]
	v_pk_fma_f32 v[52:53], v[90:91], s[10:11], v[52:53] op_sel_hi:[1,0,0]
	v_pk_add_f32 v[88:89], v[98:99], v[110:111] op_sel:[1,0]
	v_pk_fma_f32 v[52:53], v[58:59], s[8:9], v[52:53] op_sel_hi:[1,0,1]
	v_mov_b32_e32 v40, v95
	v_pk_fma_f32 v[88:89], v[54:55], s[2:3], v[88:89] op_sel_hi:[1,0,1]
	v_pk_add_f32 v[52:53], v[52:53], v[40:41] op_sel_hi:[1,0] neg_lo:[0,1] neg_hi:[0,1]
	v_mov_b32_e32 v54, v59
	v_mov_b32_e32 v55, v90
	v_pk_fma_f32 v[52:53], v[54:55], s[16:17], v[52:53] op_sel_hi:[1,0,1] neg_lo:[1,0,0] neg_hi:[1,0,0]
	s_barrier
	v_pk_add_f32 v[54:55], v[52:53], v[88:89] neg_lo:[0,1] neg_hi:[0,1]
	v_mov_b32_e32 v53, v101
	v_mov_b32_e32 v52, v54
	v_pk_fma_f32 v[106:107], v[88:89], 2.0, v[54:55] op_sel_hi:[1,0,1]
	ds_write2_b64 v133, v[48:49], v[52:53] offset1:1
	v_mov_b32_e32 v52, v51
	v_mov_b32_e32 v53, v100
	;; [unrolled: 1-line block ×4, first 2 shown]
	v_fma_f32 v59, -2.0, v92, v104
	ds_write2_b64 v133, v[52:53], v[56:57] offset0:2 offset1:3
	v_mov_b32_e32 v52, v55
	v_mov_b32_e32 v53, v104
	;; [unrolled: 1-line block ×6, first 2 shown]
	ds_write2_b64 v133, v[52:53], v[58:59] offset0:4 offset1:5
	ds_write2_b64 v133, v[44:45], v[46:47] offset0:6 offset1:7
	ds_write_b64 v133, v[40:41] offset:64
	s_waitcnt lgkmcnt(0)
	s_barrier
	s_and_saveexec_b64 s[2:3], s[0:1]
	s_xor_b64 s[0:1], exec, s[2:3]
	s_andn2_saveexec_b64 s[0:1], s[0:1]
	s_cbranch_execz .LBB0_9
; %bb.8:
	v_add_u32_e32 v40, 0xc00, v67
	ds_read2_b64 v[52:55], v67 offset1:81
	ds_read2_b64 v[48:51], v67 offset0:162 offset1:243
	v_add_u32_e32 v56, 0x800, v67
	ds_read2_b64 v[44:47], v40 offset0:102 offset1:183
	v_add_u32_e32 v40, 0x1000, v67
	ds_read2_b64 v[40:43], v40 offset0:136 offset1:217
	ds_read2_b64 v[56:59], v56 offset0:68 offset1:149
	ds_read_b64 v[82:83], v67 offset:6480
	s_waitcnt lgkmcnt(4)
	v_mov_b32_e32 v105, v51
	v_mov_b32_e32 v100, v49
	s_waitcnt lgkmcnt(3)
	v_mov_b32_e32 v102, v44
	v_mov_b32_e32 v103, v46
	s_waitcnt lgkmcnt(2)
	v_mov_b32_e32 v106, v40
	s_waitcnt lgkmcnt(1)
	v_mov_b32_e32 v107, v58
	v_mov_b32_e32 v104, v57
	;; [unrolled: 1-line block ×5, first 2 shown]
	v_mov_b64_e32 v[48:49], v[52:53]
.LBB0_9:
	s_or_b64 exec, exec, s[0:1]
	v_mov_b32_e32 v94, v20
	v_mov_b32_e32 v95, v20
	;; [unrolled: 1-line block ×30, first 2 shown]
	v_add_u32_e32 v40, 0x630, v67
	s_waitcnt lgkmcnt(0)
	s_barrier
	s_and_saveexec_b64 s[0:1], vcc
	s_cbranch_execz .LBB0_11
; %bb.10:
	v_pk_mul_f32 v[110:111], v[14:15], v[82:83] op_sel:[0,1]
	v_mov_b32_e32 v44, v51
	v_pk_mul_f32 v[116:117], v[10:11], v[44:45] op_sel_hi:[1,0]
	v_pk_fma_f32 v[126:127], v[14:15], v[82:83], v[110:111] op_sel:[0,0,1] op_sel_hi:[1,1,0]
	v_pk_fma_f32 v[14:15], v[14:15], v[82:83], v[110:111] op_sel:[0,0,1] op_sel_hi:[1,0,0] neg_lo:[1,0,0] neg_hi:[1,0,0]
	v_pk_mul_f32 v[114:115], v[12:13], v[42:43] op_sel:[0,1]
	v_mov_b32_e32 v127, v15
	v_pk_fma_f32 v[14:15], v[10:11], v[100:101], v[116:117] op_sel:[1,0,0] op_sel_hi:[0,1,1]
	v_pk_fma_f32 v[10:11], v[10:11], v[100:101], v[116:117] op_sel:[1,0,0] op_sel_hi:[0,0,1] neg_lo:[0,0,1] neg_hi:[0,0,1]
	v_mov_b32_e32 v44, v41
	v_pk_mul_f32 v[120:121], v[16:17], v[104:105] op_sel:[0,1]
	v_mov_b32_e32 v15, v11
	v_pk_fma_f32 v[10:11], v[12:13], v[42:43], v[114:115] op_sel:[0,0,1] op_sel_hi:[1,1,0]
	v_pk_fma_f32 v[12:13], v[12:13], v[42:43], v[114:115] op_sel:[0,0,1] op_sel_hi:[1,0,0] neg_lo:[1,0,0] neg_hi:[1,0,0]
	v_pk_mul_f32 v[118:119], v[6:7], v[44:45] op_sel_hi:[1,0]
	v_mov_b32_e32 v44, v47
	v_mov_b32_e32 v11, v13
	v_pk_fma_f32 v[12:13], v[16:17], v[50:51], v[120:121] op_sel:[0,0,1] op_sel_hi:[1,1,0]
	v_pk_fma_f32 v[16:17], v[16:17], v[50:51], v[120:121] op_sel:[0,0,1] op_sel_hi:[1,0,0] neg_lo:[1,0,0] neg_hi:[1,0,0]
	v_pk_mul_f32 v[46:47], v[4:5], v[44:45] op_sel_hi:[1,0]
	v_pk_mul_f32 v[104:105], v[18:19], v[104:105] op_sel_hi:[1,0]
	v_mov_b32_e32 v44, v55
	v_mov_b32_e32 v58, v55
	;; [unrolled: 1-line block ×3, first 2 shown]
	v_pk_fma_f32 v[16:17], v[6:7], v[106:107], v[118:119] op_sel:[0,0,1] op_sel_hi:[1,1,0]
	v_pk_fma_f32 v[6:7], v[6:7], v[106:107], v[118:119] op_sel:[0,0,1] op_sel_hi:[1,0,0] neg_lo:[1,0,0] neg_hi:[1,0,0]
	v_mov_b32_e32 v124, v59
	v_mov_b32_e32 v17, v7
	v_pk_fma_f32 v[6:7], v[18:19], v[44:45], v[104:105] op_sel:[0,0,1] op_sel_hi:[1,1,0]
	v_pk_fma_f32 v[18:19], v[18:19], v[58:59], v[104:105] op_sel:[0,0,1] op_sel_hi:[1,0,0] neg_lo:[1,0,0] neg_hi:[1,0,0]
	v_mov_b32_e32 v122, v45
	v_pk_mul_f32 v[124:125], v[0:1], v[124:125] op_sel_hi:[1,0]
	v_mov_b32_e32 v7, v19
	v_pk_fma_f32 v[18:19], v[4:5], v[102:103], v[46:47] op_sel:[0,1,1] op_sel_hi:[1,1,0]
	v_pk_fma_f32 v[4:5], v[4:5], v[102:103], v[46:47] op_sel:[0,1,1] op_sel_hi:[1,1,0] neg_lo:[1,0,0] neg_hi:[1,0,0]
	v_pk_mul_f32 v[122:123], v[2:3], v[122:123] op_sel_hi:[1,0]
	v_mov_b32_e32 v19, v5
	v_pk_fma_f32 v[4:5], v[0:1], v[106:107], v[124:125] op_sel:[0,1,1] op_sel_hi:[1,1,0]
	v_pk_fma_f32 v[0:1], v[0:1], v[106:107], v[124:125] op_sel:[0,1,1] op_sel_hi:[1,1,0] neg_lo:[1,0,0] neg_hi:[1,0,0]
	v_pk_mul_f32 v[112:113], v[8:9], v[100:101] op_sel:[0,1]
	v_mov_b32_e32 v5, v1
	v_pk_fma_f32 v[0:1], v[2:3], v[102:103], v[122:123] op_sel:[0,0,1] op_sel_hi:[1,1,0]
	v_pk_fma_f32 v[2:3], v[2:3], v[102:103], v[122:123] op_sel:[0,0,1] op_sel_hi:[1,0,0] neg_lo:[1,0,0] neg_hi:[1,0,0]
	s_mov_b32 s18, 0xbf0a6770
	v_mov_b32_e32 v1, v3
	v_pk_fma_f32 v[2:3], v[8:9], v[54:55], v[112:113] op_sel:[0,0,1] op_sel_hi:[1,1,0]
	v_pk_fma_f32 v[8:9], v[8:9], v[54:55], v[112:113] op_sel:[0,0,1] op_sel_hi:[1,0,0] neg_lo:[1,0,0] neg_hi:[1,0,0]
	v_pk_add_f32 v[46:47], v[14:15], v[10:11] neg_lo:[0,1] neg_hi:[0,1]
	v_mov_b32_e32 v3, v9
	v_pk_add_f32 v[42:43], v[2:3], v[126:127] neg_lo:[0,1] neg_hi:[0,1]
	v_pk_add_f32 v[8:9], v[126:127], v[2:3]
	s_mov_b32 s8, 0x3f575c64
	v_pk_mul_f32 v[104:105], v[42:43], s[18:19] op_sel_hi:[1,0]
	s_mov_b32 s26, 0xbf68dda4
	v_pk_add_f32 v[44:45], v[10:11], v[14:15]
	v_pk_fma_f32 v[106:107], v[8:9], s[8:9], v[104:105] op_sel:[0,0,1] op_sel_hi:[1,0,0]
	v_pk_fma_f32 v[104:105], v[8:9], s[8:9], v[104:105] op_sel:[0,0,1] op_sel_hi:[1,0,0] neg_lo:[0,0,1] neg_hi:[0,0,1]
	s_mov_b32 s2, 0x3ed4b147
	v_pk_mul_f32 v[112:113], v[46:47], s[26:27] op_sel_hi:[1,0]
	v_mov_b32_e32 v110, v106
	v_mov_b32_e32 v111, v105
	v_pk_fma_f32 v[114:115], v[44:45], s[2:3], v[112:113] op_sel:[0,0,1] op_sel_hi:[1,0,0]
	v_pk_fma_f32 v[112:113], v[44:45], s[2:3], v[112:113] op_sel:[0,0,1] op_sel_hi:[1,0,0] neg_lo:[0,0,1] neg_hi:[0,0,1]
	v_pk_add_f32 v[54:55], v[12:13], v[16:17] neg_lo:[0,1] neg_hi:[0,1]
	v_pk_add_f32 v[110:111], v[48:49], v[110:111]
	v_mov_b32_e32 v116, v114
	v_mov_b32_e32 v117, v113
	s_mov_b32 s14, 0xbf7d64f0
	v_pk_add_f32 v[50:51], v[16:17], v[12:13]
	v_pk_add_f32 v[110:111], v[116:117], v[110:111]
	s_mov_b32 s10, 0xbe11bafb
	v_pk_mul_f32 v[116:117], v[54:55], s[14:15] op_sel_hi:[1,0]
	v_pk_add_f32 v[2:3], v[48:49], v[2:3]
	v_pk_fma_f32 v[118:119], v[50:51], s[10:11], v[116:117] op_sel:[0,0,1] op_sel_hi:[1,0,0]
	v_pk_fma_f32 v[116:117], v[50:51], s[10:11], v[116:117] op_sel:[0,0,1] op_sel_hi:[1,0,0] neg_lo:[0,0,1] neg_hi:[0,0,1]
	v_pk_add_f32 v[2:3], v[14:15], v[2:3]
	v_pk_add_f32 v[82:83], v[6:7], v[18:19] neg_lo:[0,1] neg_hi:[0,1]
	v_mov_b32_e32 v120, v118
	v_mov_b32_e32 v121, v117
	s_mov_b32 s20, 0xbf4178ce
	v_pk_add_f32 v[2:3], v[12:13], v[2:3]
	v_pk_add_f32 v[58:59], v[18:19], v[6:7]
	;; [unrolled: 1-line block ×3, first 2 shown]
	s_mov_b32 s16, 0xbf27a4f4
	v_pk_mul_f32 v[120:121], v[82:83], s[20:21] op_sel_hi:[1,0]
	v_pk_add_f32 v[2:3], v[6:7], v[2:3]
	v_pk_fma_f32 v[122:123], v[58:59], s[16:17], v[120:121] op_sel:[0,0,1] op_sel_hi:[1,0,0]
	v_pk_fma_f32 v[120:121], v[58:59], s[16:17], v[120:121] op_sel:[0,0,1] op_sel_hi:[1,0,0] neg_lo:[0,0,1] neg_hi:[0,0,1]
	v_pk_add_f32 v[2:3], v[4:5], v[2:3]
	v_pk_add_f32 v[100:101], v[0:1], v[4:5]
	v_pk_add_f32 v[102:103], v[4:5], v[0:1] neg_lo:[0,1] neg_hi:[0,1]
	v_mov_b32_e32 v124, v122
	v_mov_b32_e32 v125, v121
	s_mov_b32 s24, 0xbe903f40
	v_pk_add_f32 v[0:1], v[0:1], v[2:3]
	v_mul_u32_u24_e32 v41, 0x63, v131
	v_pk_add_f32 v[110:111], v[124:125], v[110:111]
	s_mov_b32 s22, 0xbf75a155
	v_pk_mul_f32 v[124:125], v[102:103], s[24:25] op_sel_hi:[1,0]
	v_pk_add_f32 v[0:1], v[18:19], v[0:1]
	v_add_u32_sdwa v41, v41, v132 dst_sel:DWORD dst_unused:UNUSED_PAD src0_sel:DWORD src1_sel:BYTE_0
	v_pk_fma_f32 v[128:129], v[100:101], s[22:23], v[124:125] op_sel:[0,0,1] op_sel_hi:[1,0,0]
	v_pk_fma_f32 v[124:125], v[100:101], s[22:23], v[124:125] op_sel:[0,0,1] op_sel_hi:[1,0,0] neg_lo:[0,0,1] neg_hi:[0,0,1]
	v_pk_add_f32 v[0:1], v[16:17], v[0:1]
	v_lshl_add_u32 v41, v41, 3, v130
	v_mov_b32_e32 v130, v128
	v_mov_b32_e32 v131, v125
	v_pk_add_f32 v[0:1], v[10:11], v[0:1]
	v_pk_add_f32 v[110:111], v[130:131], v[110:111]
	;; [unrolled: 1-line block ×3, first 2 shown]
	ds_write2_b64 v41, v[0:1], v[110:111] offset1:9
	v_pk_mul_f32 v[0:1], v[42:43], s[26:27] op_sel_hi:[1,0]
	v_pk_mul_f32 v[6:7], v[46:47], s[20:21] op_sel_hi:[1,0]
	v_pk_fma_f32 v[2:3], v[8:9], s[2:3], v[0:1] op_sel:[0,0,1] op_sel_hi:[1,0,0]
	v_pk_fma_f32 v[0:1], v[8:9], s[2:3], v[0:1] op_sel:[0,0,1] op_sel_hi:[1,0,0] neg_lo:[0,0,1] neg_hi:[0,0,1]
	v_mov_b32_e32 v4, v2
	v_mov_b32_e32 v5, v1
	v_pk_fma_f32 v[10:11], v[44:45], s[16:17], v[6:7] op_sel:[0,0,1] op_sel_hi:[1,0,0]
	v_pk_fma_f32 v[6:7], v[44:45], s[16:17], v[6:7] op_sel:[0,0,1] op_sel_hi:[1,0,0] neg_lo:[0,0,1] neg_hi:[0,0,1]
	v_pk_add_f32 v[4:5], v[48:49], v[4:5]
	v_mov_b32_e32 v12, v10
	v_mov_b32_e32 v13, v7
	s_mov_b32 s26, 0x3e903f40
	v_pk_add_f32 v[4:5], v[12:13], v[4:5]
	v_pk_mul_f32 v[12:13], v[54:55], s[26:27] op_sel_hi:[1,0]
	s_mov_b32 s28, 0x3f7d64f0
	v_pk_fma_f32 v[14:15], v[50:51], s[22:23], v[12:13] op_sel:[0,0,1] op_sel_hi:[1,0,0]
	v_pk_fma_f32 v[12:13], v[50:51], s[22:23], v[12:13] op_sel:[0,0,1] op_sel_hi:[1,0,0] neg_lo:[0,0,1] neg_hi:[0,0,1]
	v_mov_b32_e32 v16, v14
	v_mov_b32_e32 v17, v13
	v_pk_add_f32 v[4:5], v[16:17], v[4:5]
	v_pk_mul_f32 v[16:17], v[82:83], s[28:29] op_sel_hi:[1,0]
	s_mov_b32 s30, 0x3f0a6770
	v_pk_fma_f32 v[18:19], v[58:59], s[10:11], v[16:17] op_sel:[0,0,1] op_sel_hi:[1,0,0]
	v_pk_fma_f32 v[16:17], v[58:59], s[10:11], v[16:17] op_sel:[0,0,1] op_sel_hi:[1,0,0] neg_lo:[0,0,1] neg_hi:[0,0,1]
	v_mov_b32_e32 v110, v18
	v_mov_b32_e32 v111, v17
	v_pk_add_f32 v[4:5], v[110:111], v[4:5]
	v_pk_mul_f32 v[110:111], v[102:103], s[30:31] op_sel_hi:[1,0]
	v_pk_mul_f32 v[136:137], v[46:47], s[26:27] op_sel_hi:[1,0]
	v_pk_fma_f32 v[126:127], v[100:101], s[8:9], v[110:111] op_sel:[0,0,1] op_sel_hi:[1,0,0]
	v_pk_fma_f32 v[110:111], v[100:101], s[8:9], v[110:111] op_sel:[0,0,1] op_sel_hi:[1,0,0] neg_lo:[0,0,1] neg_hi:[0,0,1]
	v_mov_b32_e32 v130, v126
	v_mov_b32_e32 v131, v111
	v_pk_add_f32 v[4:5], v[130:131], v[4:5]
	v_pk_mul_f32 v[130:131], v[42:43], s[14:15] op_sel_hi:[1,0]
	v_pk_fma_f32 v[138:139], v[44:45], s[22:23], v[136:137] op_sel:[0,0,1] op_sel_hi:[1,0,0]
	v_pk_fma_f32 v[132:133], v[8:9], s[10:11], v[130:131] op_sel:[0,0,1] op_sel_hi:[1,0,0]
	v_pk_fma_f32 v[130:131], v[8:9], s[10:11], v[130:131] op_sel:[0,0,1] op_sel_hi:[1,0,0] neg_lo:[0,0,1] neg_hi:[0,0,1]
	v_mov_b32_e32 v134, v132
	v_mov_b32_e32 v135, v131
	v_pk_fma_f32 v[136:137], v[44:45], s[22:23], v[136:137] op_sel:[0,0,1] op_sel_hi:[1,0,0] neg_lo:[0,0,1] neg_hi:[0,0,1]
	v_pk_add_f32 v[134:135], v[48:49], v[134:135]
	v_mov_b32_e32 v140, v138
	v_mov_b32_e32 v141, v137
	s_mov_b32 s26, 0x3f68dda4
	v_pk_add_f32 v[134:135], v[140:141], v[134:135]
	v_pk_mul_f32 v[140:141], v[54:55], s[26:27] op_sel_hi:[1,0]
	v_pk_mul_f32 v[154:155], v[46:47], s[28:29] op_sel_hi:[1,0]
	v_pk_fma_f32 v[142:143], v[50:51], s[2:3], v[140:141] op_sel:[0,0,1] op_sel_hi:[1,0,0]
	v_pk_fma_f32 v[140:141], v[50:51], s[2:3], v[140:141] op_sel:[0,0,1] op_sel_hi:[1,0,0] neg_lo:[0,0,1] neg_hi:[0,0,1]
	v_mov_b32_e32 v144, v142
	v_mov_b32_e32 v145, v141
	v_pk_add_f32 v[134:135], v[144:145], v[134:135]
	v_pk_mul_f32 v[144:145], v[82:83], s[18:19] op_sel_hi:[1,0]
	v_pk_fma_f32 v[156:157], v[44:45], s[10:11], v[154:155] op_sel:[0,0,1] op_sel_hi:[1,0,0]
	v_pk_fma_f32 v[146:147], v[58:59], s[8:9], v[144:145] op_sel:[0,0,1] op_sel_hi:[1,0,0]
	v_pk_fma_f32 v[144:145], v[58:59], s[8:9], v[144:145] op_sel:[0,0,1] op_sel_hi:[1,0,0] neg_lo:[0,0,1] neg_hi:[0,0,1]
	v_mov_b32_e32 v148, v146
	v_mov_b32_e32 v149, v145
	v_pk_add_f32 v[134:135], v[148:149], v[134:135]
	v_pk_mul_f32 v[148:149], v[102:103], s[20:21] op_sel_hi:[1,0]
	v_pk_fma_f32 v[154:155], v[44:45], s[10:11], v[154:155] op_sel:[0,0,1] op_sel_hi:[1,0,0] neg_lo:[0,0,1] neg_hi:[0,0,1]
	v_pk_fma_f32 v[150:151], v[100:101], s[16:17], v[148:149] op_sel:[0,0,1] op_sel_hi:[1,0,0]
	v_pk_fma_f32 v[148:149], v[100:101], s[16:17], v[148:149] op_sel:[0,0,1] op_sel_hi:[1,0,0] neg_lo:[0,0,1] neg_hi:[0,0,1]
	v_mov_b32_e32 v152, v150
	v_mov_b32_e32 v153, v149
	v_pk_add_f32 v[134:135], v[152:153], v[134:135]
	ds_write2_b64 v41, v[4:5], v[134:135] offset0:18 offset1:27
	v_pk_mul_f32 v[4:5], v[42:43], s[20:21] op_sel_hi:[1,0]
	v_mov_b32_e32 v158, v156
	v_pk_fma_f32 v[134:135], v[8:9], s[16:17], v[4:5] op_sel:[0,0,1] op_sel_hi:[1,0,0]
	v_pk_fma_f32 v[4:5], v[8:9], s[16:17], v[4:5] op_sel:[0,0,1] op_sel_hi:[1,0,0] neg_lo:[0,0,1] neg_hi:[0,0,1]
	v_mov_b32_e32 v152, v134
	v_mov_b32_e32 v153, v5
	v_pk_add_f32 v[152:153], v[48:49], v[152:153]
	v_mov_b32_e32 v159, v155
	v_pk_add_f32 v[152:153], v[158:159], v[152:153]
	v_pk_mul_f32 v[158:159], v[54:55], s[18:19] op_sel_hi:[1,0]
	v_pk_mul_f32 v[42:43], v[42:43], s[24:25] op_sel_hi:[1,0]
	v_pk_fma_f32 v[160:161], v[50:51], s[8:9], v[158:159] op_sel:[0,0,1] op_sel_hi:[1,0,0]
	v_pk_fma_f32 v[158:159], v[50:51], s[8:9], v[158:159] op_sel:[0,0,1] op_sel_hi:[1,0,0] neg_lo:[0,0,1] neg_hi:[0,0,1]
	v_mov_b32_e32 v162, v160
	v_mov_b32_e32 v163, v159
	v_pk_add_f32 v[152:153], v[162:163], v[152:153]
	v_pk_mul_f32 v[162:163], v[82:83], s[24:25] op_sel_hi:[1,0]
	v_pk_mul_f32 v[46:47], v[46:47], s[30:31] op_sel_hi:[1,0]
	v_pk_fma_f32 v[164:165], v[58:59], s[22:23], v[162:163] op_sel:[0,0,1] op_sel_hi:[1,0,0]
	v_pk_fma_f32 v[162:163], v[58:59], s[22:23], v[162:163] op_sel:[0,0,1] op_sel_hi:[1,0,0] neg_lo:[0,0,1] neg_hi:[0,0,1]
	v_mov_b32_e32 v166, v164
	v_mov_b32_e32 v167, v163
	v_pk_add_f32 v[152:153], v[166:167], v[152:153]
	v_pk_mul_f32 v[166:167], v[102:103], s[26:27] op_sel_hi:[1,0]
	v_pk_fma_f32 v[172:173], v[44:45], s[8:9], v[46:47] op_sel:[0,0,1] op_sel_hi:[1,0,0]
	v_pk_fma_f32 v[168:169], v[100:101], s[2:3], v[166:167] op_sel:[0,0,1] op_sel_hi:[1,0,0]
	v_pk_fma_f32 v[166:167], v[100:101], s[2:3], v[166:167] op_sel:[0,0,1] op_sel_hi:[1,0,0] neg_lo:[0,0,1] neg_hi:[0,0,1]
	v_mov_b32_e32 v170, v168
	v_mov_b32_e32 v171, v167
	v_pk_add_f32 v[152:153], v[170:171], v[152:153]
	v_pk_fma_f32 v[170:171], v[8:9], s[22:23], v[42:43] op_sel:[0,0,1] op_sel_hi:[1,0,0]
	v_pk_fma_f32 v[8:9], v[8:9], s[22:23], v[42:43] op_sel:[0,0,1] op_sel_hi:[1,0,0] neg_lo:[0,0,1] neg_hi:[0,0,1]
	v_mov_b32_e32 v42, v170
	v_mov_b32_e32 v43, v9
	v_pk_fma_f32 v[44:45], v[44:45], s[8:9], v[46:47] op_sel:[0,0,1] op_sel_hi:[1,0,0] neg_lo:[0,0,1] neg_hi:[0,0,1]
	v_pk_add_f32 v[42:43], v[48:49], v[42:43]
	v_mov_b32_e32 v46, v172
	v_mov_b32_e32 v47, v45
	v_pk_add_f32 v[42:43], v[46:47], v[42:43]
	v_pk_mul_f32 v[46:47], v[54:55], s[20:21] op_sel_hi:[1,0]
	v_mov_b32_e32 v9, v171
	v_pk_fma_f32 v[54:55], v[50:51], s[16:17], v[46:47] op_sel:[0,0,1] op_sel_hi:[1,0,0]
	v_pk_fma_f32 v[46:47], v[50:51], s[16:17], v[46:47] op_sel:[0,0,1] op_sel_hi:[1,0,0] neg_lo:[0,0,1] neg_hi:[0,0,1]
	v_mov_b32_e32 v50, v54
	v_mov_b32_e32 v51, v47
	v_pk_add_f32 v[42:43], v[50:51], v[42:43]
	v_pk_mul_f32 v[50:51], v[82:83], s[26:27] op_sel_hi:[1,0]
	v_mov_b32_e32 v5, v135
	v_pk_fma_f32 v[82:83], v[58:59], s[2:3], v[50:51] op_sel:[0,0,1] op_sel_hi:[1,0,0]
	v_pk_fma_f32 v[50:51], v[58:59], s[2:3], v[50:51] op_sel:[0,0,1] op_sel_hi:[1,0,0] neg_lo:[0,0,1] neg_hi:[0,0,1]
	v_mov_b32_e32 v58, v82
	v_mov_b32_e32 v59, v51
	v_pk_add_f32 v[8:9], v[48:49], v[8:9]
	v_mov_b32_e32 v45, v173
	v_pk_add_f32 v[4:5], v[48:49], v[4:5]
	;; [unrolled: 2-line block ×3, first 2 shown]
	v_pk_mul_f32 v[58:59], v[102:103], s[14:15] op_sel_hi:[1,0]
	v_pk_add_f32 v[8:9], v[44:45], v[8:9]
	v_mov_b32_e32 v47, v55
	v_pk_add_f32 v[4:5], v[154:155], v[4:5]
	v_mov_b32_e32 v159, v161
	v_pk_fma_f32 v[102:103], v[100:101], s[10:11], v[58:59] op_sel:[0,0,1] op_sel_hi:[1,0,0]
	v_pk_fma_f32 v[58:59], v[100:101], s[10:11], v[58:59] op_sel:[0,0,1] op_sel_hi:[1,0,0] neg_lo:[0,0,1] neg_hi:[0,0,1]
	v_pk_add_f32 v[8:9], v[46:47], v[8:9]
	v_mov_b32_e32 v51, v83
	v_pk_add_f32 v[4:5], v[158:159], v[4:5]
	v_mov_b32_e32 v163, v165
	v_mov_b32_e32 v101, v59
	v_pk_add_f32 v[8:9], v[50:51], v[8:9]
	v_mov_b32_e32 v59, v103
	v_pk_add_f32 v[4:5], v[162:163], v[4:5]
	;; [unrolled: 2-line block ×3, first 2 shown]
	v_pk_add_f32 v[4:5], v[166:167], v[4:5]
	v_mov_b32_e32 v131, v133
	v_mov_b32_e32 v1, v3
	ds_write2_b64 v41, v[8:9], v[4:5] offset0:54 offset1:63
	v_pk_add_f32 v[4:5], v[48:49], v[130:131]
	v_mov_b32_e32 v137, v139
	v_pk_add_f32 v[0:1], v[48:49], v[0:1]
	v_mov_b32_e32 v7, v11
	;; [unrolled: 2-line block ×8, first 2 shown]
	v_pk_add_f32 v[4:5], v[148:149], v[4:5]
	v_pk_add_f32 v[0:1], v[110:111], v[0:1]
	v_mov_b32_e32 v105, v107
	ds_write2_b64 v41, v[4:5], v[0:1] offset0:72 offset1:81
	v_pk_add_f32 v[0:1], v[48:49], v[104:105]
	v_mov_b32_e32 v113, v115
	v_pk_add_f32 v[0:1], v[112:113], v[0:1]
	v_mov_b32_e32 v117, v119
	;; [unrolled: 2-line block ×3, first 2 shown]
	v_mov_b32_e32 v100, v102
	v_pk_add_f32 v[0:1], v[120:121], v[0:1]
	v_mov_b32_e32 v125, v129
	v_pk_add_f32 v[42:43], v[100:101], v[42:43]
	v_pk_add_f32 v[0:1], v[124:125], v[0:1]
	ds_write2_b64 v41, v[152:153], v[42:43] offset0:36 offset1:45
	ds_write_b64 v41, v[0:1] offset:720
.LBB0_11:
	s_or_b64 exec, exec, s[0:1]
	v_add_u32_e32 v41, 0x400, v67
	s_waitcnt lgkmcnt(0)
	s_barrier
	ds_read2_b64 v[0:3], v41 offset0:70 offset1:169
	v_add_u32_e32 v44, 0x1000, v67
	ds_read2_b64 v[8:11], v44 offset0:82 offset1:181
	ds_read2_b64 v[4:7], v67 offset1:99
	v_add_u32_e32 v45, 0x800, v67
	s_waitcnt lgkmcnt(2)
	v_pk_mul_f32 v[12:13], v[20:21], v[2:3]
	s_mov_b32 s0, 0x3f5db3d7
	v_pk_fma_f32 v[14:15], v[94:95], v[2:3], v[12:13] op_sel:[0,0,1] op_sel_hi:[1,1,0]
	v_pk_fma_f32 v[2:3], v[94:95], v[2:3], v[12:13] op_sel:[0,0,1] op_sel_hi:[1,1,0] neg_lo:[0,0,1] neg_hi:[0,0,1]
	v_mov_b32_e32 v16, s12
	v_mov_b32_e32 v15, v3
	s_waitcnt lgkmcnt(1)
	v_pk_mul_f32 v[2:3], v[22:23], v[8:9]
	v_mov_b32_e32 v17, s13
	v_pk_fma_f32 v[12:13], v[92:93], v[8:9], v[2:3] op_sel:[0,0,1] op_sel_hi:[1,1,0]
	v_pk_fma_f32 v[2:3], v[92:93], v[8:9], v[2:3] op_sel:[0,0,1] op_sel_hi:[1,1,0] neg_lo:[0,0,1] neg_hi:[0,0,1]
	s_nop 0
	v_mov_b32_e32 v13, v3
	s_waitcnt lgkmcnt(0)
	v_pk_add_f32 v[2:3], v[4:5], v[14:15]
	s_nop 0
	v_pk_add_f32 v[8:9], v[2:3], v[12:13]
	v_pk_add_f32 v[2:3], v[14:15], v[12:13]
	v_pk_add_f32 v[12:13], v[14:15], v[12:13] neg_lo:[0,1] neg_hi:[0,1]
	v_pk_fma_f32 v[18:19], v[2:3], 0.5, v[4:5] op_sel_hi:[1,0,1] neg_lo:[1,0,0] neg_hi:[1,0,0]
	ds_read2_b64 v[2:5], v45 offset0:140 offset1:239
	v_pk_mul_f32 v[12:13], v[12:13], s[0:1] op_sel_hi:[1,0]
	s_waitcnt lgkmcnt(0)
	v_pk_mul_f32 v[24:25], v[24:25], v[4:5]
	v_pk_add_f32 v[14:15], v[18:19], v[12:13] op_sel:[0,1] op_sel_hi:[1,0] neg_lo:[0,1] neg_hi:[0,1]
	v_pk_add_f32 v[12:13], v[18:19], v[12:13] op_sel:[0,1] op_sel_hi:[1,0]
	ds_read_b64 v[18:19], v67 offset:6336
	v_pk_fma_f32 v[42:43], v[98:99], v[4:5], v[24:25] op_sel:[0,0,1] op_sel_hi:[1,1,0]
	v_pk_fma_f32 v[4:5], v[98:99], v[4:5], v[24:25] op_sel:[0,0,1] op_sel_hi:[1,1,0] neg_lo:[0,0,1] neg_hi:[0,0,1]
	s_waitcnt lgkmcnt(0)
	v_mov_b32_e32 v43, v5
	v_pk_mul_f32 v[4:5], v[26:27], v[18:19]
	s_barrier
	v_pk_fma_f32 v[24:25], v[96:97], v[18:19], v[4:5] op_sel:[0,0,1] op_sel_hi:[1,1,0]
	v_pk_fma_f32 v[4:5], v[96:97], v[18:19], v[4:5] op_sel:[0,0,1] op_sel_hi:[1,1,0] neg_lo:[0,0,1] neg_hi:[0,0,1]
	s_nop 0
	v_mov_b32_e32 v25, v5
	v_pk_add_f32 v[4:5], v[42:43], v[24:25]
	v_pk_add_f32 v[18:19], v[42:43], v[24:25] neg_lo:[0,1] neg_hi:[0,1]
	v_pk_fma_f32 v[4:5], v[4:5], 0.5, v[0:1] op_sel_hi:[1,0,1] neg_lo:[1,0,0] neg_hi:[1,0,0]
	v_pk_mul_f32 v[18:19], v[18:19], s[0:1] op_sel_hi:[1,0]
	v_pk_add_f32 v[0:1], v[0:1], v[42:43]
	v_pk_add_f32 v[26:27], v[4:5], v[18:19] op_sel:[0,1] op_sel_hi:[1,0]
	v_pk_add_f32 v[4:5], v[4:5], v[18:19] op_sel:[0,1] op_sel_hi:[1,0] neg_lo:[0,1] neg_hi:[0,1]
	v_pk_mul_f32 v[18:19], v[20:21], v[2:3]
	v_pk_add_f32 v[0:1], v[0:1], v[24:25]
	v_pk_fma_f32 v[20:21], v[94:95], v[2:3], v[18:19] op_sel:[0,0,1] op_sel_hi:[1,1,0]
	v_pk_fma_f32 v[2:3], v[94:95], v[2:3], v[18:19] op_sel:[0,0,1] op_sel_hi:[1,1,0] neg_lo:[0,0,1] neg_hi:[0,0,1]
	s_nop 0
	v_mov_b32_e32 v21, v3
	v_pk_mul_f32 v[2:3], v[22:23], v[10:11]
	s_nop 0
	v_pk_fma_f32 v[18:19], v[92:93], v[10:11], v[2:3] op_sel:[0,0,1] op_sel_hi:[1,1,0]
	v_pk_fma_f32 v[2:3], v[92:93], v[10:11], v[2:3] op_sel:[0,0,1] op_sel_hi:[1,1,0] neg_lo:[0,0,1] neg_hi:[0,0,1]
	s_nop 0
	v_mov_b32_e32 v19, v3
	v_pk_add_f32 v[2:3], v[20:21], v[18:19]
	v_pk_add_f32 v[10:11], v[20:21], v[18:19] neg_lo:[0,1] neg_hi:[0,1]
	v_pk_fma_f32 v[2:3], v[2:3], 0.5, v[6:7] op_sel_hi:[1,0,1] neg_lo:[1,0,0] neg_hi:[1,0,0]
	v_pk_mul_f32 v[10:11], v[10:11], s[0:1] op_sel_hi:[1,0]
	v_pk_add_f32 v[6:7], v[6:7], v[20:21]
	v_pk_add_f32 v[22:23], v[2:3], v[10:11] op_sel:[0,1] op_sel_hi:[1,0]
	v_pk_add_f32 v[2:3], v[2:3], v[10:11] op_sel:[0,1] op_sel_hi:[1,0] neg_lo:[0,1] neg_hi:[0,1]
	v_mov_b32_e32 v11, v13
	v_mov_b32_e32 v13, v15
	v_pk_add_f32 v[6:7], v[6:7], v[18:19]
	v_mov_b32_e32 v10, v14
	ds_write2_b64 v41, v[12:13], v[6:7] offset0:70 offset1:169
	v_mov_b32_e32 v6, v2
	v_mov_b32_e32 v7, v23
	;; [unrolled: 1-line block ×5, first 2 shown]
	v_add_u32_e32 v4, 0x1000, v61
	v_mov_b32_e32 v27, v5
	ds_write2_b64 v67, v[8:9], v[10:11] offset1:99
	ds_write2_b64 v45, v[6:7], v[22:23] offset0:140 offset1:239
	ds_write2_b64 v4, v[0:1], v[2:3] offset0:82 offset1:181
	ds_write_b64 v61, v[26:27] offset:6336
	s_waitcnt lgkmcnt(0)
	s_barrier
	ds_read2_b64 v[0:3], v41 offset0:70 offset1:169
	ds_read2_b64 v[4:7], v67 offset1:99
	ds_read2_b64 v[8:11], v44 offset0:82 offset1:181
	v_mad_u64_u32 v[18:19], s[2:3], s6, v66, 0
	s_waitcnt lgkmcnt(2)
	v_pk_mul_f32 v[12:13], v[36:37], v[2:3]
	s_nop 0
	v_pk_fma_f32 v[20:21], v[90:91], v[2:3], v[12:13] op_sel:[0,0,1] op_sel_hi:[1,1,0]
	v_pk_fma_f32 v[2:3], v[90:91], v[2:3], v[12:13] op_sel:[0,0,1] op_sel_hi:[1,1,0] neg_lo:[0,0,1] neg_hi:[0,0,1]
	ds_read2_b64 v[12:15], v45 offset0:140 offset1:239
	v_mov_b32_e32 v21, v3
	s_waitcnt lgkmcnt(1)
	v_pk_mul_f32 v[2:3], v[38:39], v[8:9]
	s_waitcnt lgkmcnt(0)
	v_pk_mul_f32 v[26:27], v[28:29], v[14:15]
	v_pk_fma_f32 v[22:23], v[88:89], v[8:9], v[2:3] op_sel:[0,0,1] op_sel_hi:[1,1,0]
	v_pk_fma_f32 v[2:3], v[88:89], v[8:9], v[2:3] op_sel:[0,0,1] op_sel_hi:[1,1,0] neg_lo:[0,0,1] neg_hi:[0,0,1]
	v_pk_mul_f32 v[8:9], v[32:33], v[12:13]
	v_pk_fma_f32 v[28:29], v[56:57], v[14:15], v[26:27] op_sel:[0,0,1] op_sel_hi:[1,1,0]
	v_pk_fma_f32 v[24:25], v[86:87], v[12:13], v[8:9] op_sel:[0,0,1] op_sel_hi:[1,1,0]
	v_pk_fma_f32 v[8:9], v[86:87], v[12:13], v[8:9] op_sel:[0,0,1] op_sel_hi:[1,1,0] neg_lo:[0,0,1] neg_hi:[0,0,1]
	v_pk_fma_f32 v[14:15], v[56:57], v[14:15], v[26:27] op_sel:[0,0,1] op_sel_hi:[1,1,0] neg_lo:[0,0,1] neg_hi:[0,0,1]
	v_mov_b32_e32 v25, v9
	v_pk_mul_f32 v[8:9], v[34:35], v[10:11]
	v_mov_b32_e32 v23, v3
	v_pk_fma_f32 v[12:13], v[84:85], v[10:11], v[8:9] op_sel:[0,0,1] op_sel_hi:[1,1,0]
	v_pk_fma_f32 v[8:9], v[84:85], v[10:11], v[8:9] op_sel:[0,0,1] op_sel_hi:[1,1,0] neg_lo:[0,0,1] neg_hi:[0,0,1]
	ds_read_b64 v[10:11], v67 offset:6336
	v_mov_b32_e32 v29, v15
	v_pk_add_f32 v[2:3], v[4:5], v[20:21]
	v_mov_b32_e32 v13, v9
	v_pk_add_f32 v[2:3], v[2:3], v[22:23]
	s_waitcnt lgkmcnt(0)
	v_pk_mul_f32 v[14:15], v[30:31], v[10:11]
	v_pk_add_f32 v[8:9], v[6:7], v[24:25]
	v_pk_fma_f32 v[26:27], v[52:53], v[10:11], v[14:15] op_sel:[0,0,1] op_sel_hi:[1,1,0]
	v_pk_fma_f32 v[10:11], v[52:53], v[10:11], v[14:15] op_sel:[0,0,1] op_sel_hi:[1,1,0] neg_lo:[0,0,1] neg_hi:[0,0,1]
	v_pk_add_f32 v[14:15], v[20:21], v[22:23]
	v_pk_add_f32 v[8:9], v[8:9], v[12:13]
	v_pk_fma_f32 v[4:5], v[14:15], 0.5, v[4:5] op_sel_hi:[1,0,1] neg_lo:[1,0,0] neg_hi:[1,0,0]
	v_pk_add_f32 v[14:15], v[20:21], v[22:23] neg_lo:[0,1] neg_hi:[0,1]
	v_mov_b32_e32 v27, v11
	v_pk_mul_f32 v[14:15], v[14:15], s[0:1] op_sel_hi:[1,0]
	v_pk_add_f32 v[10:11], v[0:1], v[28:29]
	v_pk_add_f32 v[20:21], v[4:5], v[14:15] op_sel:[0,1] op_sel_hi:[1,0] neg_lo:[0,1] neg_hi:[0,1]
	v_pk_add_f32 v[4:5], v[4:5], v[14:15] op_sel:[0,1] op_sel_hi:[1,0]
	v_mov_b32_e32 v14, v20
	v_mov_b32_e32 v15, v5
	;; [unrolled: 1-line block ×3, first 2 shown]
	ds_write_b64 v67, v[14:15] offset:2376
	ds_write_b64 v67, v[4:5] offset:4752
	ds_write2_b64 v67, v[2:3], v[8:9] offset1:99
	v_pk_add_f32 v[2:3], v[24:25], v[12:13]
	v_pk_add_f32 v[4:5], v[24:25], v[12:13] neg_lo:[0,1] neg_hi:[0,1]
	v_pk_fma_f32 v[2:3], v[2:3], 0.5, v[6:7] op_sel_hi:[1,0,1] neg_lo:[1,0,0] neg_hi:[1,0,0]
	v_pk_mul_f32 v[4:5], v[4:5], s[0:1] op_sel_hi:[1,0]
	v_pk_add_f32 v[10:11], v[10:11], v[26:27]
	v_pk_add_f32 v[6:7], v[2:3], v[4:5] op_sel:[0,1] op_sel_hi:[1,0] neg_lo:[0,1] neg_hi:[0,1]
	v_pk_add_f32 v[2:3], v[2:3], v[4:5] op_sel:[0,1] op_sel_hi:[1,0]
	v_mov_b32_e32 v4, v6
	v_mov_b32_e32 v5, v3
	;; [unrolled: 1-line block ×3, first 2 shown]
	ds_write_b64 v108, v[4:5] offset:3168
	ds_write_b64 v108, v[2:3] offset:5544
	;; [unrolled: 1-line block ×3, first 2 shown]
	v_pk_add_f32 v[2:3], v[28:29], v[26:27]
	v_mov_b32_e32 v8, 0x318
	v_pk_fma_f32 v[0:1], v[2:3], 0.5, v[0:1] op_sel_hi:[1,0,1] neg_lo:[1,0,0] neg_hi:[1,0,0]
	v_pk_add_f32 v[2:3], v[28:29], v[26:27] neg_lo:[0,1] neg_hi:[0,1]
	s_nop 0
	v_pk_mul_f32 v[2:3], v[2:3], s[0:1] op_sel_hi:[1,0]
	s_nop 0
	v_pk_add_f32 v[4:5], v[0:1], v[2:3] op_sel:[0,1] op_sel_hi:[1,0] neg_lo:[0,1] neg_hi:[0,1]
	v_pk_add_f32 v[0:1], v[0:1], v[2:3] op_sel:[0,1] op_sel_hi:[1,0]
	v_mov_b32_e32 v2, v4
	v_mov_b32_e32 v3, v1
	;; [unrolled: 1-line block ×3, first 2 shown]
	ds_write_b64 v40, v[2:3] offset:2376
	ds_write_b64 v40, v[0:1] offset:4752
	s_waitcnt lgkmcnt(0)
	s_barrier
	ds_read2_b64 v[0:3], v67 offset1:99
	v_mov_b32_e32 v4, v19
	v_mad_u64_u32 v[4:5], s[0:1], s7, v66, v[4:5]
	v_mov_b32_e32 v19, v4
	s_waitcnt lgkmcnt(0)
	v_mul_f32_e32 v4, v81, v1
	v_fmac_f32_e32 v4, v80, v0
	v_mul_f32_e32 v0, v81, v0
	s_mov_b32 s0, 0x7210aa18
	v_fma_f32 v0, v80, v1, -v0
	v_cvt_f64_f32_e32 v[4:5], v4
	s_mov_b32 s1, 0x3f526369
	v_cvt_f64_f32_e32 v[0:1], v0
	v_mul_f64 v[4:5], v[4:5], s[0:1]
	v_mul_f64 v[0:1], v[0:1], s[0:1]
	v_cvt_f32_f64_e32 v4, v[4:5]
	v_cvt_f32_f64_e32 v5, v[0:1]
	v_mad_u64_u32 v[0:1], s[2:3], s4, v60, 0
	v_mov_b32_e32 v6, v1
	v_mad_u64_u32 v[6:7], s[2:3], s5, v60, v[6:7]
	v_mov_b32_e32 v1, v6
	v_lshl_add_u64 v[6:7], v[18:19], 3, v[16:17]
	v_lshl_add_u64 v[6:7], v[0:1], 3, v[6:7]
	v_mul_f32_e32 v0, v79, v3
	v_fmac_f32_e32 v0, v78, v2
	v_cvt_f64_f32_e32 v[0:1], v0
	v_mul_f64 v[0:1], v[0:1], s[0:1]
	global_store_dwordx2 v[6:7], v[4:5], off
	v_cvt_f32_f64_e32 v4, v[0:1]
	v_mul_f32_e32 v0, v79, v2
	v_fma_f32 v0, v78, v3, -v0
	v_cvt_f64_f32_e32 v[0:1], v0
	v_mul_f64 v[0:1], v[0:1], s[0:1]
	v_cvt_f32_f64_e32 v5, v[0:1]
	ds_read2_b64 v[0:3], v41 offset0:70 offset1:169
	v_mad_u64_u32 v[6:7], s[2:3], s4, v8, v[6:7]
	s_mulk_i32 s5, 0x318
	v_add_u32_e32 v7, s5, v7
	global_store_dwordx2 v[6:7], v[4:5], off
	s_waitcnt lgkmcnt(0)
	v_mul_f32_e32 v4, v77, v1
	v_fmac_f32_e32 v4, v76, v0
	v_mul_f32_e32 v0, v77, v0
	v_fma_f32 v0, v76, v1, -v0
	v_cvt_f64_f32_e32 v[4:5], v4
	v_cvt_f64_f32_e32 v[0:1], v0
	v_mul_f64 v[4:5], v[4:5], s[0:1]
	v_mul_f64 v[0:1], v[0:1], s[0:1]
	v_cvt_f32_f64_e32 v4, v[4:5]
	v_cvt_f32_f64_e32 v5, v[0:1]
	v_mul_f32_e32 v0, v73, v3
	v_fmac_f32_e32 v0, v72, v2
	v_mad_u64_u32 v[6:7], s[2:3], s4, v8, v[6:7]
	v_cvt_f64_f32_e32 v[0:1], v0
	v_add_u32_e32 v7, s5, v7
	v_mul_f64 v[0:1], v[0:1], s[0:1]
	global_store_dwordx2 v[6:7], v[4:5], off
	v_cvt_f32_f64_e32 v4, v[0:1]
	v_mul_f32_e32 v0, v73, v2
	v_fma_f32 v0, v72, v3, -v0
	v_cvt_f64_f32_e32 v[0:1], v0
	v_mul_f64 v[0:1], v[0:1], s[0:1]
	v_cvt_f32_f64_e32 v5, v[0:1]
	ds_read2_b64 v[0:3], v45 offset0:140 offset1:239
	v_mad_u64_u32 v[6:7], s[2:3], s4, v8, v[6:7]
	v_add_u32_e32 v7, s5, v7
	global_store_dwordx2 v[6:7], v[4:5], off
	s_waitcnt lgkmcnt(0)
	v_mul_f32_e32 v4, v75, v1
	v_fmac_f32_e32 v4, v74, v0
	v_mul_f32_e32 v0, v75, v0
	v_fma_f32 v0, v74, v1, -v0
	v_cvt_f64_f32_e32 v[4:5], v4
	v_cvt_f64_f32_e32 v[0:1], v0
	v_mul_f64 v[4:5], v[4:5], s[0:1]
	v_mul_f64 v[0:1], v[0:1], s[0:1]
	v_cvt_f32_f64_e32 v4, v[4:5]
	v_cvt_f32_f64_e32 v5, v[0:1]
	v_mul_f32_e32 v0, v71, v3
	v_fmac_f32_e32 v0, v70, v2
	v_mad_u64_u32 v[6:7], s[2:3], s4, v8, v[6:7]
	v_cvt_f64_f32_e32 v[0:1], v0
	v_add_u32_e32 v7, s5, v7
	v_mul_f64 v[0:1], v[0:1], s[0:1]
	global_store_dwordx2 v[6:7], v[4:5], off
	v_cvt_f32_f64_e32 v4, v[0:1]
	v_mul_f32_e32 v0, v71, v2
	v_fma_f32 v0, v70, v3, -v0
	v_cvt_f64_f32_e32 v[0:1], v0
	v_mul_f64 v[0:1], v[0:1], s[0:1]
	v_cvt_f32_f64_e32 v5, v[0:1]
	ds_read2_b64 v[0:3], v44 offset0:82 offset1:181
	v_mad_u64_u32 v[6:7], s[2:3], s4, v8, v[6:7]
	v_add_u32_e32 v7, s5, v7
	global_store_dwordx2 v[6:7], v[4:5], off
	s_waitcnt lgkmcnt(0)
	v_mul_f32_e32 v4, v69, v1
	v_fmac_f32_e32 v4, v68, v0
	v_mul_f32_e32 v0, v69, v0
	v_fma_f32 v0, v68, v1, -v0
	v_cvt_f64_f32_e32 v[4:5], v4
	v_cvt_f64_f32_e32 v[0:1], v0
	v_mul_f64 v[4:5], v[4:5], s[0:1]
	v_mul_f64 v[0:1], v[0:1], s[0:1]
	v_cvt_f32_f64_e32 v4, v[4:5]
	v_cvt_f32_f64_e32 v5, v[0:1]
	v_mad_u64_u32 v[0:1], s[2:3], s4, v8, v[6:7]
	v_add_u32_e32 v1, s5, v1
	global_store_dwordx2 v[0:1], v[4:5], off
	v_mul_f32_e32 v4, v65, v3
	v_fmac_f32_e32 v4, v64, v2
	v_mul_f32_e32 v2, v65, v2
	v_fma_f32 v2, v64, v3, -v2
	v_cvt_f64_f32_e32 v[4:5], v4
	v_cvt_f64_f32_e32 v[2:3], v2
	v_mul_f64 v[4:5], v[4:5], s[0:1]
	v_mul_f64 v[2:3], v[2:3], s[0:1]
	v_cvt_f32_f64_e32 v4, v[4:5]
	v_cvt_f32_f64_e32 v5, v[2:3]
	ds_read_b64 v[2:3], v67 offset:6336
	v_mad_u64_u32 v[0:1], s[2:3], s4, v8, v[0:1]
	v_add_u32_e32 v1, s5, v1
	global_store_dwordx2 v[0:1], v[4:5], off
	s_waitcnt lgkmcnt(0)
	v_mul_f32_e32 v4, v63, v3
	v_fmac_f32_e32 v4, v62, v2
	v_mul_f32_e32 v2, v63, v2
	v_fma_f32 v2, v62, v3, -v2
	v_cvt_f64_f32_e32 v[4:5], v4
	v_cvt_f64_f32_e32 v[2:3], v2
	v_mul_f64 v[4:5], v[4:5], s[0:1]
	v_mul_f64 v[2:3], v[2:3], s[0:1]
	v_mad_u64_u32 v[0:1], s[0:1], s4, v8, v[0:1]
	v_cvt_f32_f64_e32 v4, v[4:5]
	v_cvt_f32_f64_e32 v5, v[2:3]
	v_add_u32_e32 v1, s5, v1
	global_store_dwordx2 v[0:1], v[4:5], off
.LBB0_12:
	s_endpgm
	.section	.rodata,"a",@progbits
	.p2align	6, 0x0
	.amdhsa_kernel bluestein_single_back_len891_dim1_sp_op_CI_CI
		.amdhsa_group_segment_fixed_size 14256
		.amdhsa_private_segment_fixed_size 0
		.amdhsa_kernarg_size 104
		.amdhsa_user_sgpr_count 2
		.amdhsa_user_sgpr_dispatch_ptr 0
		.amdhsa_user_sgpr_queue_ptr 0
		.amdhsa_user_sgpr_kernarg_segment_ptr 1
		.amdhsa_user_sgpr_dispatch_id 0
		.amdhsa_user_sgpr_kernarg_preload_length 0
		.amdhsa_user_sgpr_kernarg_preload_offset 0
		.amdhsa_user_sgpr_private_segment_size 0
		.amdhsa_uses_dynamic_stack 0
		.amdhsa_enable_private_segment 0
		.amdhsa_system_sgpr_workgroup_id_x 1
		.amdhsa_system_sgpr_workgroup_id_y 0
		.amdhsa_system_sgpr_workgroup_id_z 0
		.amdhsa_system_sgpr_workgroup_info 0
		.amdhsa_system_vgpr_workitem_id 0
		.amdhsa_next_free_vgpr 174
		.amdhsa_next_free_sgpr 40
		.amdhsa_accum_offset 176
		.amdhsa_reserve_vcc 1
		.amdhsa_float_round_mode_32 0
		.amdhsa_float_round_mode_16_64 0
		.amdhsa_float_denorm_mode_32 3
		.amdhsa_float_denorm_mode_16_64 3
		.amdhsa_dx10_clamp 1
		.amdhsa_ieee_mode 1
		.amdhsa_fp16_overflow 0
		.amdhsa_tg_split 0
		.amdhsa_exception_fp_ieee_invalid_op 0
		.amdhsa_exception_fp_denorm_src 0
		.amdhsa_exception_fp_ieee_div_zero 0
		.amdhsa_exception_fp_ieee_overflow 0
		.amdhsa_exception_fp_ieee_underflow 0
		.amdhsa_exception_fp_ieee_inexact 0
		.amdhsa_exception_int_div_zero 0
	.end_amdhsa_kernel
	.text
.Lfunc_end0:
	.size	bluestein_single_back_len891_dim1_sp_op_CI_CI, .Lfunc_end0-bluestein_single_back_len891_dim1_sp_op_CI_CI
                                        ; -- End function
	.section	.AMDGPU.csdata,"",@progbits
; Kernel info:
; codeLenInByte = 10792
; NumSgprs: 46
; NumVgprs: 174
; NumAgprs: 0
; TotalNumVgprs: 174
; ScratchSize: 0
; MemoryBound: 0
; FloatMode: 240
; IeeeMode: 1
; LDSByteSize: 14256 bytes/workgroup (compile time only)
; SGPRBlocks: 5
; VGPRBlocks: 21
; NumSGPRsForWavesPerEU: 46
; NumVGPRsForWavesPerEU: 174
; AccumOffset: 176
; Occupancy: 2
; WaveLimiterHint : 1
; COMPUTE_PGM_RSRC2:SCRATCH_EN: 0
; COMPUTE_PGM_RSRC2:USER_SGPR: 2
; COMPUTE_PGM_RSRC2:TRAP_HANDLER: 0
; COMPUTE_PGM_RSRC2:TGID_X_EN: 1
; COMPUTE_PGM_RSRC2:TGID_Y_EN: 0
; COMPUTE_PGM_RSRC2:TGID_Z_EN: 0
; COMPUTE_PGM_RSRC2:TIDIG_COMP_CNT: 0
; COMPUTE_PGM_RSRC3_GFX90A:ACCUM_OFFSET: 43
; COMPUTE_PGM_RSRC3_GFX90A:TG_SPLIT: 0
	.text
	.p2alignl 6, 3212836864
	.fill 256, 4, 3212836864
	.type	__hip_cuid_862ed7e87de1ec4c,@object ; @__hip_cuid_862ed7e87de1ec4c
	.section	.bss,"aw",@nobits
	.globl	__hip_cuid_862ed7e87de1ec4c
__hip_cuid_862ed7e87de1ec4c:
	.byte	0                               ; 0x0
	.size	__hip_cuid_862ed7e87de1ec4c, 1

	.ident	"AMD clang version 19.0.0git (https://github.com/RadeonOpenCompute/llvm-project roc-6.4.0 25133 c7fe45cf4b819c5991fe208aaa96edf142730f1d)"
	.section	".note.GNU-stack","",@progbits
	.addrsig
	.addrsig_sym __hip_cuid_862ed7e87de1ec4c
	.amdgpu_metadata
---
amdhsa.kernels:
  - .agpr_count:     0
    .args:
      - .actual_access:  read_only
        .address_space:  global
        .offset:         0
        .size:           8
        .value_kind:     global_buffer
      - .actual_access:  read_only
        .address_space:  global
        .offset:         8
        .size:           8
        .value_kind:     global_buffer
      - .actual_access:  read_only
        .address_space:  global
        .offset:         16
        .size:           8
        .value_kind:     global_buffer
      - .actual_access:  read_only
        .address_space:  global
        .offset:         24
        .size:           8
        .value_kind:     global_buffer
      - .actual_access:  read_only
        .address_space:  global
        .offset:         32
        .size:           8
        .value_kind:     global_buffer
      - .offset:         40
        .size:           8
        .value_kind:     by_value
      - .address_space:  global
        .offset:         48
        .size:           8
        .value_kind:     global_buffer
      - .address_space:  global
        .offset:         56
        .size:           8
        .value_kind:     global_buffer
      - .address_space:  global
        .offset:         64
        .size:           8
        .value_kind:     global_buffer
      - .address_space:  global
        .offset:         72
        .size:           8
        .value_kind:     global_buffer
      - .offset:         80
        .size:           4
        .value_kind:     by_value
      - .address_space:  global
        .offset:         88
        .size:           8
        .value_kind:     global_buffer
      - .address_space:  global
        .offset:         96
        .size:           8
        .value_kind:     global_buffer
    .group_segment_fixed_size: 14256
    .kernarg_segment_align: 8
    .kernarg_segment_size: 104
    .language:       OpenCL C
    .language_version:
      - 2
      - 0
    .max_flat_workgroup_size: 198
    .name:           bluestein_single_back_len891_dim1_sp_op_CI_CI
    .private_segment_fixed_size: 0
    .sgpr_count:     46
    .sgpr_spill_count: 0
    .symbol:         bluestein_single_back_len891_dim1_sp_op_CI_CI.kd
    .uniform_work_group_size: 1
    .uses_dynamic_stack: false
    .vgpr_count:     174
    .vgpr_spill_count: 0
    .wavefront_size: 64
amdhsa.target:   amdgcn-amd-amdhsa--gfx950
amdhsa.version:
  - 1
  - 2
...

	.end_amdgpu_metadata
